;; amdgpu-corpus repo=ROCm/rocFFT kind=compiled arch=gfx1100 opt=O3
	.text
	.amdgcn_target "amdgcn-amd-amdhsa--gfx1100"
	.amdhsa_code_object_version 6
	.protected	bluestein_single_fwd_len1452_dim1_dp_op_CI_CI ; -- Begin function bluestein_single_fwd_len1452_dim1_dp_op_CI_CI
	.globl	bluestein_single_fwd_len1452_dim1_dp_op_CI_CI
	.p2align	8
	.type	bluestein_single_fwd_len1452_dim1_dp_op_CI_CI,@function
bluestein_single_fwd_len1452_dim1_dp_op_CI_CI: ; @bluestein_single_fwd_len1452_dim1_dp_op_CI_CI
; %bb.0:
	s_load_b128 s[16:19], s[0:1], 0x28
	v_mul_u32_u24_e32 v1, 0x1f1, v0
	s_mov_b32 s2, exec_lo
	v_mov_b32_e32 v3, 0
	s_delay_alu instid0(VALU_DEP_2) | instskip(NEXT) | instid1(VALU_DEP_1)
	v_lshrrev_b32_e32 v1, 16, v1
	v_add_nc_u32_e32 v2, s15, v1
	s_waitcnt lgkmcnt(0)
	s_delay_alu instid0(VALU_DEP_1)
	v_cmpx_gt_u64_e64 s[16:17], v[2:3]
	s_cbranch_execz .LBB0_18
; %bb.1:
	s_clause 0x1
	s_load_b128 s[4:7], s[0:1], 0x18
	s_load_b128 s[8:11], s[0:1], 0x0
	v_mul_lo_u16 v1, 0x84, v1
	s_mov_b32 s22, 0xf8bb580b
	s_mov_b32 s23, 0xbfe14ced
	;; [unrolled: 1-line block ×4, first 2 shown]
	v_sub_nc_u16 v68, v0, v1
	v_mov_b32_e32 v0, v2
	s_mov_b32 s24, 0xbb3a28a1
	s_mov_b32 s25, 0xbfe82f19
	;; [unrolled: 1-line block ×3, first 2 shown]
	v_and_b32_e32 v255, 0xffff, v68
	s_mov_b32 s27, 0xbfd207e7
	s_mov_b32 s29, 0x3fe14ced
	;; [unrolled: 1-line block ×7, first 2 shown]
	s_waitcnt lgkmcnt(0)
	s_load_b128 s[12:15], s[4:5], 0x0
	s_mov_b32 s30, s20
	s_mov_b32 s17, 0xbfeeb42a
	s_waitcnt lgkmcnt(0)
	v_mad_u64_u32 v[16:17], null, s12, v255, 0
	v_mad_u64_u32 v[8:9], null, s14, v2, 0
	s_mul_hi_u32 s3, s12, 0x840
	s_mul_i32 s4, s12, 0x840
	s_delay_alu instid0(VALU_DEP_2) | instskip(SKIP_1) | instid1(VALU_DEP_1)
	v_mov_b32_e32 v12, v17
	v_lshlrev_b32_e32 v204, 4, v255
	v_add_co_u32 v205, s2, s8, v204
	s_delay_alu instid0(VALU_DEP_1) | instskip(SKIP_1) | instid1(VALU_DEP_2)
	v_add_co_ci_u32_e64 v206, null, s9, 0, s2
	s_mul_i32 s2, s13, 0x840
	v_add_co_u32 v10, vcc_lo, 0x1000, v205
	s_delay_alu instid0(VALU_DEP_2) | instskip(SKIP_1) | instid1(VALU_DEP_3)
	v_add_co_ci_u32_e32 v11, vcc_lo, 0, v206, vcc_lo
	v_add_co_u32 v18, vcc_lo, 0x2000, v205
	v_mad_u64_u32 v[13:14], null, s15, v2, v[9:10]
	v_add_co_ci_u32_e32 v19, vcc_lo, 0, v206, vcc_lo
	v_add_co_u32 v20, vcc_lo, 0x3000, v205
	v_add_co_ci_u32_e32 v21, vcc_lo, 0, v206, vcc_lo
	s_delay_alu instid0(VALU_DEP_4) | instskip(SKIP_2) | instid1(VALU_DEP_3)
	v_mov_b32_e32 v9, v13
	v_mad_u64_u32 v[14:15], null, s13, v255, v[12:13]
	v_add_co_u32 v32, vcc_lo, 0x4000, v205
	v_lshlrev_b64 v[22:23], 4, v[8:9]
	v_add_co_ci_u32_e32 v33, vcc_lo, 0, v206, vcc_lo
	v_add_co_u32 v42, vcc_lo, 0x5000, v205
	v_mov_b32_e32 v17, v14
	v_add_co_ci_u32_e32 v43, vcc_lo, 0, v206, vcc_lo
	s_clause 0x1
	global_load_b128 v[3:6], v204, s[8:9]
	global_load_b128 v[24:27], v204, s[8:9] offset:2112
	scratch_store_b64 off, v[0:1], off      ; 8-byte Folded Spill
	v_lshlrev_b64 v[16:17], 4, v[16:17]
	v_add_co_u32 v0, vcc_lo, s18, v22
	v_add_co_ci_u32_e32 v1, vcc_lo, s19, v23, vcc_lo
	s_add_i32 s3, s3, s2
	s_delay_alu instid0(VALU_DEP_2) | instskip(NEXT) | instid1(VALU_DEP_2)
	v_add_co_u32 v34, vcc_lo, v0, v16
	v_add_co_ci_u32_e32 v35, vcc_lo, v1, v17, vcc_lo
	s_clause 0x1
	global_load_b128 v[12:15], v[10:11], off offset:128
	global_load_b128 v[7:10], v[10:11], off offset:2240
	v_add_co_u32 v36, vcc_lo, v34, s4
	v_add_co_ci_u32_e32 v37, vcc_lo, s3, v35, vcc_lo
	s_clause 0x1
	global_load_b128 v[28:31], v[18:19], off offset:256
	global_load_b128 v[16:19], v[18:19], off offset:2368
	v_add_co_u32 v38, vcc_lo, v36, s4
	v_add_co_ci_u32_e32 v39, vcc_lo, s3, v37, vcc_lo
	s_clause 0x1
	global_load_b128 v[133:136], v[20:21], off offset:384
	global_load_b128 v[20:23], v[20:21], off offset:2496
	v_add_co_u32 v40, vcc_lo, v38, s4
	v_add_co_ci_u32_e32 v41, vcc_lo, s3, v39, vcc_lo
	s_clause 0x1
	global_load_b128 v[44:47], v[34:35], off
	global_load_b128 v[48:51], v[36:37], off
	v_add_co_u32 v34, vcc_lo, v40, s4
	v_add_co_ci_u32_e32 v35, vcc_lo, s3, v41, vcc_lo
	global_load_b128 v[52:55], v[38:39], off
	v_add_co_u32 v36, vcc_lo, v34, s4
	v_add_co_ci_u32_e32 v37, vcc_lo, s3, v35, vcc_lo
	s_clause 0x1
	global_load_b128 v[56:59], v[40:41], off
	global_load_b128 v[60:63], v[34:35], off
	v_add_co_u32 v34, vcc_lo, v36, s4
	v_add_co_ci_u32_e32 v35, vcc_lo, s3, v37, vcc_lo
	global_load_b128 v[64:67], v[36:37], off
	v_add_co_u32 v36, vcc_lo, v34, s4
	v_add_co_ci_u32_e32 v37, vcc_lo, s3, v35, vcc_lo
	global_load_b128 v[69:72], v[34:35], off
	v_add_co_u32 v34, vcc_lo, v36, s4
	v_add_co_ci_u32_e32 v35, vcc_lo, s3, v37, vcc_lo
	global_load_b128 v[73:76], v[36:37], off
	v_add_co_u32 v40, vcc_lo, v34, s4
	v_add_co_ci_u32_e32 v41, vcc_lo, s3, v35, vcc_lo
	global_load_b128 v[77:80], v[34:35], off
	v_add_co_u32 v85, vcc_lo, v40, s4
	v_add_co_ci_u32_e32 v86, vcc_lo, s3, v41, vcc_lo
	s_clause 0x1
	global_load_b128 v[36:39], v[32:33], off offset:512
	global_load_b128 v[32:35], v[32:33], off offset:2624
	global_load_b128 v[81:84], v[40:41], off
	scratch_store_b64 off, v[42:43], off offset:236 ; 8-byte Folded Spill
	global_load_b128 v[40:43], v[42:43], off offset:640
	global_load_b128 v[85:88], v[85:86], off
	s_load_b128 s[4:7], s[6:7], 0x0
	s_mov_b32 s19, 0xbfed1bb4
	s_mov_b32 s18, 0x8eee2c13
	;; [unrolled: 1-line block ×10, first 2 shown]
	v_mul_lo_u16 v0, v68, 11
	v_cmp_gt_u16_e32 vcc_lo, 0x58, v68
	s_delay_alu instid0(VALU_DEP_2)
	v_and_b32_e32 v0, 0xffff, v0
	s_waitcnt vmcnt(21)
	scratch_store_b128 off, v[3:6], off offset:8 ; 16-byte Folded Spill
	s_waitcnt vmcnt(20)
	scratch_store_b128 off, v[24:27], off offset:24 ; 16-byte Folded Spill
	;; [unrolled: 2-line block ×8, first 2 shown]
	s_waitcnt vmcnt(13)
	v_mul_f64 v[89:90], v[46:47], v[5:6]
	v_mul_f64 v[91:92], v[44:45], v[5:6]
	s_waitcnt vmcnt(12)
	v_mul_f64 v[93:94], v[50:51], v[26:27]
	v_mul_f64 v[95:96], v[48:49], v[26:27]
	;; [unrolled: 3-line block ×11, first 2 shown]
	v_fma_f64 v[44:45], v[44:45], v[3:4], v[89:90]
	v_fma_f64 v[46:47], v[46:47], v[3:4], -v[91:92]
	v_fma_f64 v[48:49], v[48:49], v[24:25], v[93:94]
	v_fma_f64 v[50:51], v[50:51], v[24:25], -v[95:96]
	;; [unrolled: 2-line block ×3, first 2 shown]
	s_clause 0x1
	scratch_store_b128 off, v[36:39], off offset:152
	scratch_store_b128 off, v[32:35], off offset:136
	v_fma_f64 v[56:57], v[56:57], v[7:8], v[101:102]
	v_fma_f64 v[58:59], v[58:59], v[7:8], -v[103:104]
	v_fma_f64 v[60:61], v[60:61], v[28:29], v[105:106]
	v_fma_f64 v[62:63], v[62:63], v[28:29], -v[107:108]
	scratch_store_b128 off, v[40:43], off offset:168 ; 16-byte Folded Spill
	v_fma_f64 v[64:65], v[64:65], v[16:17], v[109:110]
	v_fma_f64 v[66:67], v[66:67], v[16:17], -v[111:112]
	v_fma_f64 v[69:70], v[69:70], v[133:134], v[113:114]
	v_fma_f64 v[71:72], v[71:72], v[133:134], -v[115:116]
	;; [unrolled: 2-line block ×6, first 2 shown]
	ds_store_b128 v204, v[44:47]
	ds_store_b128 v204, v[48:51] offset:2112
	ds_store_b128 v204, v[52:55] offset:4224
	;; [unrolled: 1-line block ×10, first 2 shown]
	s_waitcnt lgkmcnt(0)
	s_waitcnt_vscnt null, 0x0
	s_barrier
	buffer_gl0_inv
	ds_load_b128 v[48:51], v204
	ds_load_b128 v[69:72], v204 offset:2112
	ds_load_b128 v[44:47], v204 offset:21120
	;; [unrolled: 1-line block ×10, first 2 shown]
	s_waitcnt lgkmcnt(0)
	s_barrier
	buffer_gl0_inv
	v_add_f64 v[89:90], v[48:49], v[69:70]
	v_add_f64 v[91:92], v[50:51], v[71:72]
	v_add_f64 v[93:94], v[71:72], -v[46:47]
	v_add_f64 v[95:96], v[69:70], -v[44:45]
	;; [unrolled: 1-line block ×4, first 2 shown]
	v_add_f64 v[105:106], v[77:78], v[56:57]
	v_add_f64 v[107:108], v[79:80], v[58:59]
	v_add_f64 v[97:98], v[73:74], -v[52:53]
	v_add_f64 v[99:100], v[75:76], -v[54:55]
	v_add_f64 v[69:70], v[69:70], v[44:45]
	v_add_f64 v[71:72], v[71:72], v[46:47]
	v_add_f64 v[121:122], v[85:86], -v[64:65]
	v_add_f64 v[109:110], v[81:82], v[60:61]
	v_add_f64 v[111:112], v[83:84], -v[62:63]
	v_add_f64 v[113:114], v[81:82], -v[60:61]
	v_add_f64 v[115:116], v[83:84], v[62:63]
	v_add_f64 v[117:118], v[85:86], v[64:65]
	v_add_f64 v[119:120], v[87:88], v[66:67]
	v_add_f64 v[123:124], v[87:88], -v[66:67]
	v_add_f64 v[89:90], v[89:90], v[73:74]
	v_add_f64 v[91:92], v[91:92], v[75:76]
	v_mul_f64 v[125:126], v[93:94], s[22:23]
	v_mul_f64 v[127:128], v[95:96], s[22:23]
	;; [unrolled: 1-line block ×12, first 2 shown]
	s_mov_b32 s19, 0x3fed1bb4
	v_add_f64 v[73:74], v[73:74], v[52:53]
	v_add_f64 v[75:76], v[75:76], v[54:55]
	v_mul_f64 v[145:146], v[99:100], s[24:25]
	v_mul_f64 v[147:148], v[97:98], s[24:25]
	;; [unrolled: 1-line block ×21, first 2 shown]
	v_add_f64 v[77:78], v[89:90], v[77:78]
	v_add_f64 v[79:80], v[91:92], v[79:80]
	v_mul_f64 v[89:90], v[99:100], s[34:35]
	v_mul_f64 v[91:92], v[97:98], s[34:35]
	v_fma_f64 v[209:210], v[69:70], s[8:9], -v[129:130]
	v_fma_f64 v[211:212], v[71:72], s[8:9], v[131:132]
	v_fma_f64 v[213:214], v[69:70], s[12:13], -v[133:134]
	v_fma_f64 v[215:216], v[71:72], s[12:13], v[135:136]
	v_fma_f64 v[129:130], v[69:70], s[8:9], v[129:130]
	;; [unrolled: 1-line block ×3, first 2 shown]
	v_fma_f64 v[217:218], v[69:70], s[14:15], -v[137:138]
	v_fma_f64 v[219:220], v[71:72], s[14:15], v[139:140]
	v_mul_f64 v[99:100], v[99:100], s[28:29]
	v_mul_f64 v[97:98], v[97:98], s[28:29]
	v_fma_f64 v[137:138], v[69:70], s[14:15], v[137:138]
	v_fma_f64 v[221:222], v[69:70], s[16:17], -v[93:94]
	v_fma_f64 v[223:224], v[71:72], s[16:17], v[95:96]
	v_fma_f64 v[131:132], v[71:72], s[8:9], -v[131:132]
	v_fma_f64 v[135:136], v[71:72], s[12:13], -v[135:136]
	;; [unrolled: 1-line block ×4, first 2 shown]
	v_fma_f64 v[227:228], v[75:76], s[14:15], v[147:148]
	v_fma_f64 v[145:146], v[73:74], s[14:15], v[145:146]
	v_fma_f64 v[233:234], v[73:74], s[12:13], -v[149:150]
	v_fma_f64 v[235:236], v[75:76], s[12:13], v[151:152]
	v_fma_f64 v[149:150], v[73:74], s[12:13], v[149:150]
	v_fma_f64 v[147:148], v[75:76], s[14:15], -v[147:148]
	v_mul_f64 v[175:176], v[113:114], s[30:31]
	v_mul_f64 v[177:178], v[111:112], s[22:23]
	;; [unrolled: 1-line block ×7, first 2 shown]
	v_fma_f64 v[237:238], v[105:106], s[16:17], -v[157:158]
	v_fma_f64 v[239:240], v[107:108], s[16:17], v[159:160]
	v_fma_f64 v[157:158], v[105:106], s[16:17], v[157:158]
	v_fma_f64 v[159:160], v[107:108], s[16:17], -v[159:160]
	v_add_f64 v[77:78], v[77:78], v[81:82]
	v_add_f64 v[79:80], v[79:80], v[83:84]
	v_mul_f64 v[81:82], v[121:122], s[18:19]
	v_fma_f64 v[83:84], v[69:70], s[2:3], -v[125:126]
	v_fma_f64 v[121:122], v[71:72], s[2:3], v[127:128]
	v_fma_f64 v[125:126], v[69:70], s[2:3], v[125:126]
	v_fma_f64 v[127:128], v[71:72], s[2:3], -v[127:128]
	v_fma_f64 v[69:70], v[69:70], s[16:17], v[93:94]
	v_fma_f64 v[71:72], v[71:72], s[16:17], -v[95:96]
	v_fma_f64 v[93:94], v[73:74], s[8:9], -v[141:142]
	v_fma_f64 v[95:96], v[75:76], s[8:9], v[143:144]
	v_fma_f64 v[141:142], v[73:74], s[8:9], v[141:142]
	v_fma_f64 v[143:144], v[75:76], s[8:9], -v[143:144]
	v_add_f64 v[209:210], v[48:49], v[209:210]
	v_add_f64 v[211:212], v[50:51], v[211:212]
	v_fma_f64 v[229:230], v[73:74], s[16:17], -v[89:90]
	v_fma_f64 v[231:232], v[75:76], s[16:17], v[91:92]
	v_add_f64 v[213:214], v[48:49], v[213:214]
	v_add_f64 v[215:216], v[50:51], v[215:216]
	v_fma_f64 v[89:90], v[73:74], s[16:17], v[89:90]
	v_add_f64 v[129:130], v[48:49], v[129:130]
	v_add_f64 v[133:134], v[48:49], v[133:134]
	;; [unrolled: 1-line block ×7, first 2 shown]
	v_fma_f64 v[91:92], v[75:76], s[16:17], -v[91:92]
	v_add_f64 v[135:136], v[50:51], v[135:136]
	v_add_f64 v[131:132], v[50:51], v[131:132]
	v_fma_f64 v[241:242], v[105:106], s[2:3], -v[161:162]
	v_fma_f64 v[243:244], v[107:108], s[2:3], v[163:164]
	v_fma_f64 v[161:162], v[105:106], s[2:3], v[161:162]
	v_fma_f64 v[163:164], v[107:108], s[2:3], -v[163:164]
	v_fma_f64 v[249:250], v[105:106], s[8:9], -v[101:102]
	v_fma_f64 v[101:102], v[105:106], s[8:9], v[101:102]
	v_mul_f64 v[189:190], v[123:124], s[28:29]
	v_fma_f64 v[245:246], v[109:110], s[12:13], -v[173:174]
	v_add_f64 v[77:78], v[77:78], v[85:86]
	v_add_f64 v[79:80], v[79:80], v[87:88]
	v_fma_f64 v[85:86], v[75:76], s[12:13], -v[151:152]
	v_add_f64 v[83:84], v[48:49], v[83:84]
	v_fma_f64 v[87:88], v[73:74], s[2:3], -v[99:100]
	v_add_f64 v[125:126], v[48:49], v[125:126]
	v_add_f64 v[127:128], v[50:51], v[127:128]
	v_fma_f64 v[151:152], v[75:76], s[2:3], v[97:98]
	v_fma_f64 v[73:74], v[73:74], s[2:3], v[99:100]
	v_fma_f64 v[75:76], v[75:76], s[2:3], -v[97:98]
	v_add_f64 v[48:49], v[48:49], v[69:70]
	v_add_f64 v[69:70], v[50:51], v[71:72]
	;; [unrolled: 1-line block ×4, first 2 shown]
	v_fma_f64 v[97:98], v[105:106], s[12:13], -v[153:154]
	v_fma_f64 v[99:100], v[107:108], s[12:13], v[155:156]
	v_fma_f64 v[153:154], v[105:106], s[12:13], v[153:154]
	v_fma_f64 v[155:156], v[107:108], s[12:13], -v[155:156]
	v_fma_f64 v[121:122], v[105:106], s[14:15], v[165:166]
	v_fma_f64 v[139:140], v[107:108], s[14:15], -v[167:168]
	v_add_f64 v[129:130], v[145:146], v[129:130]
	v_add_f64 v[89:90], v[89:90], v[133:134]
	;; [unrolled: 1-line block ×5, first 2 shown]
	v_fma_f64 v[247:248], v[115:116], s[12:13], v[175:176]
	v_fma_f64 v[173:174], v[109:110], s[12:13], v[173:174]
	v_fma_f64 v[175:176], v[115:116], s[12:13], -v[175:176]
	v_mul_f64 v[193:194], v[123:124], s[24:25]
	v_mul_f64 v[185:186], v[123:124], s[26:27]
	;; [unrolled: 1-line block ×4, first 2 shown]
	v_add_f64 v[64:65], v[77:78], v[64:65]
	v_add_f64 v[66:67], v[79:80], v[66:67]
	v_fma_f64 v[77:78], v[105:106], s[14:15], -v[165:166]
	v_fma_f64 v[79:80], v[107:108], s[14:15], v[167:168]
	v_fma_f64 v[105:106], v[107:108], s[8:9], v[103:104]
	v_fma_f64 v[103:104], v[107:108], s[8:9], -v[103:104]
	v_add_f64 v[83:84], v[93:94], v[83:84]
	v_add_f64 v[93:94], v[141:142], v[125:126]
	;; [unrolled: 1-line block ×15, first 2 shown]
	v_fma_f64 v[165:166], v[109:110], s[14:15], -v[169:170]
	v_fma_f64 v[167:168], v[115:116], s[14:15], v[171:172]
	v_fma_f64 v[169:170], v[109:110], s[14:15], v[169:170]
	v_fma_f64 v[171:172], v[115:116], s[14:15], -v[171:172]
	v_fma_f64 v[85:86], v[109:110], s[2:3], v[177:178]
	v_fma_f64 v[91:92], v[115:116], s[2:3], -v[179:180]
	v_fma_f64 v[95:96], v[109:110], s[16:17], -v[181:182]
	v_fma_f64 v[131:132], v[115:116], s[16:17], v[183:184]
	v_fma_f64 v[135:136], v[109:110], s[16:17], v[181:182]
	v_fma_f64 v[147:148], v[115:116], s[16:17], -v[183:184]
	v_fma_f64 v[183:184], v[109:110], s[8:9], -v[111:112]
	v_add_f64 v[89:90], v[101:102], v[89:90]
	v_add_f64 v[101:102], v[241:242], v[133:134]
	;; [unrolled: 1-line block ×3, first 2 shown]
	v_fma_f64 v[151:152], v[117:118], s[16:17], -v[185:186]
	v_fma_f64 v[181:182], v[119:120], s[16:17], -v[187:188]
	v_fma_f64 v[137:138], v[117:118], s[14:15], v[193:194]
	v_add_f64 v[60:61], v[64:65], v[60:61]
	v_add_f64 v[62:63], v[66:67], v[62:63]
	v_fma_f64 v[64:65], v[109:110], s[2:3], -v[177:178]
	v_fma_f64 v[66:67], v[115:116], s[2:3], v[179:180]
	v_fma_f64 v[109:110], v[109:110], s[8:9], v[111:112]
	;; [unrolled: 1-line block ×3, first 2 shown]
	v_fma_f64 v[113:114], v[115:116], s[8:9], -v[113:114]
	v_add_f64 v[83:84], v[97:98], v[83:84]
	v_add_f64 v[97:98], v[155:156], v[107:108]
	;; [unrolled: 1-line block ×17, first 2 shown]
	v_fma_f64 v[103:104], v[117:118], s[14:15], -v[193:194]
	v_fma_f64 v[121:122], v[119:120], s[14:15], v[195:196]
	v_fma_f64 v[153:154], v[117:118], s[8:9], -v[123:124]
	v_fma_f64 v[155:156], v[119:120], s[8:9], v[81:82]
	;; [unrolled: 2-line block ×3, first 2 shown]
	v_fma_f64 v[177:178], v[119:120], s[16:17], v[187:188]
	v_fma_f64 v[179:180], v[117:118], s[16:17], v[185:186]
	v_add_f64 v[85:86], v[85:86], v[89:90]
	v_add_f64 v[89:90], v[95:96], v[101:102]
	v_fma_f64 v[99:100], v[119:120], s[2:3], -v[191:192]
	v_fma_f64 v[139:140], v[119:120], s[14:15], -v[195:196]
	v_fma_f64 v[145:146], v[117:118], s[12:13], v[197:198]
	v_fma_f64 v[149:150], v[119:120], s[12:13], -v[207:208]
	v_add_f64 v[56:57], v[60:61], v[56:57]
	v_add_f64 v[58:59], v[62:63], v[58:59]
	v_fma_f64 v[60:61], v[117:118], s[2:3], -v[189:190]
	v_fma_f64 v[62:63], v[119:120], s[2:3], v[191:192]
	v_fma_f64 v[119:120], v[119:120], s[8:9], -v[81:82]
	v_fma_f64 v[87:88], v[117:118], s[2:3], v[189:190]
	v_fma_f64 v[117:118], v[117:118], s[8:9], v[123:124]
	v_add_f64 v[81:82], v[165:166], v[83:84]
	v_add_f64 v[97:98], v[171:172], v[97:98]
	;; [unrolled: 1-line block ×18, first 2 shown]
	v_lshlrev_b32_e32 v209, 4, v0
	s_load_b64 s[2:3], s[0:1], 0x38
	v_add_f64 v[69:70], v[153:154], v[89:90]
	v_add_f64 v[129:130], v[56:57], v[52:53]
	v_add_f64 v[54:55], v[58:59], v[54:55]
	v_add_f64 v[52:53], v[151:152], v[81:82]
	v_add_f64 v[94:95], v[181:182], v[97:98]
	v_add_f64 v[56:57], v[60:61], v[107:108]
	v_add_f64 v[58:59], v[62:63], v[115:116]
	v_add_f64 v[60:61], v[103:104], v[64:65]
	v_add_f64 v[62:63], v[121:122], v[66:67]
	v_add_f64 v[73:74], v[117:118], v[105:106]
	v_add_f64 v[71:72], v[155:156], v[101:102]
	v_add_f64 v[77:78], v[141:142], v[77:78]
	v_add_f64 v[79:80], v[143:144], v[79:80]
	v_add_f64 v[92:93], v[179:180], v[83:84]
	v_add_f64 v[81:82], v[145:146], v[109:110]
	v_add_f64 v[83:84], v[149:150], v[111:112]
	v_add_f64 v[75:76], v[119:120], v[113:114]
	v_add_f64 v[64:65], v[137:138], v[85:86]
	v_add_f64 v[66:67], v[139:140], v[125:126]
	v_add_f64 v[48:49], v[87:88], v[123:124]
	v_add_f64 v[50:51], v[99:100], v[127:128]
                                        ; implicit-def: $vgpr120_vgpr121
	v_add_f64 v[44:45], v[129:130], v[44:45]
	v_add_f64 v[46:47], v[54:55], v[46:47]
	v_add_f64 v[54:55], v[177:178], v[131:132]
	ds_store_b128 v209, v[56:59] offset:32
	ds_store_b128 v209, v[60:63] offset:48
	;; [unrolled: 1-line block ×9, first 2 shown]
	ds_store_b128 v209, v[44:47]
	ds_store_b128 v209, v[52:55] offset:16
	s_waitcnt lgkmcnt(0)
	s_barrier
	buffer_gl0_inv
	ds_load_b128 v[44:47], v204
	ds_load_b128 v[56:59], v204 offset:2112
	ds_load_b128 v[96:99], v204 offset:15488
	;; [unrolled: 1-line block ×8, first 2 shown]
	s_and_saveexec_b32 s0, vcc_lo
	s_cbranch_execz .LBB0_3
; %bb.2:
	ds_load_b128 v[48:51], v204 offset:6336
	ds_load_b128 v[92:95], v204 offset:14080
	;; [unrolled: 1-line block ×3, first 2 shown]
.LBB0_3:
	s_or_b32 exec_lo, exec_lo, s0
	v_and_b32_e32 v0, 0xff, v255
	v_add_co_u32 v1, null, 0x84, v255
	v_add_co_u32 v214, null, 0x108, v255
	s_delay_alu instid0(VALU_DEP_3) | instskip(NEXT) | instid1(VALU_DEP_3)
	v_mul_lo_u16 v0, 0x75, v0
	v_and_b32_e32 v3, 0xffff, v1
	v_add_nc_u16 v4, v255, 0x18c
	s_delay_alu instid0(VALU_DEP_4)
	v_and_b32_e32 v5, 0xffff, v214
	s_mov_b32 s0, 0xe8584caa
	v_lshrrev_b16 v0, 8, v0
	v_mul_u32_u24_e32 v3, 0xba2f, v3
	v_and_b32_e32 v6, 0xffff, v4
	v_mul_u32_u24_e32 v5, 0xba2f, v5
	s_mov_b32 s1, 0x3febb67a
	v_sub_nc_u16 v2, v255, v0
	v_lshrrev_b32_e32 v3, 19, v3
	v_mul_u32_u24_e32 v6, 0xba2f, v6
	v_lshrrev_b32_e32 v5, 19, v5
	s_mov_b32 s9, 0xbfebb67a
	v_lshrrev_b16 v2, 1, v2
	s_mov_b32 s8, s0
	v_lshrrev_b32_e32 v8, 19, v6
	s_delay_alu instid0(VALU_DEP_2) | instskip(SKIP_4) | instid1(VALU_DEP_3)
	v_and_b32_e32 v2, 0x7f, v2
	scratch_store_b32 off, v8, off offset:216 ; 4-byte Folded Spill
	v_mul_lo_u16 v8, v8, 11
	v_add_nc_u16 v0, v2, v0
	v_mul_lo_u16 v2, v3, 11
	v_sub_nc_u16 v8, v4, v8
	s_delay_alu instid0(VALU_DEP_3) | instskip(NEXT) | instid1(VALU_DEP_3)
	v_lshrrev_b16 v0, 3, v0
	v_sub_nc_u16 v1, v1, v2
	v_mul_lo_u16 v2, v5, 11
	scratch_store_b32 off, v8, off offset:220 ; 4-byte Folded Spill
	v_lshlrev_b16 v8, 1, v8
	v_mul_lo_u16 v6, v0, 11
	v_lshlrev_b16 v7, 1, v1
	v_sub_nc_u16 v2, v214, v2
	v_mad_u16 v1, v3, 33, v1
	v_and_b32_e32 v0, 0xffff, v0
	v_sub_nc_u16 v6, v255, v6
	v_and_b32_e32 v7, 0xffff, v7
	v_lshlrev_b16 v4, 1, v2
	v_mad_u16 v2, v5, 33, v2
	v_and_b32_e32 v1, 0xffff, v1
	v_and_b32_e32 v6, 0xff, v6
	v_lshlrev_b32_e32 v7, 4, v7
	v_and_b32_e32 v4, 0xffff, v4
	v_mul_u32_u24_e32 v0, 33, v0
	v_and_b32_e32 v2, 0xffff, v2
	s_clause 0x1
	global_load_b128 v[64:67], v7, s[10:11]
	global_load_b128 v[60:63], v7, s[10:11] offset:16
	v_and_b32_e32 v7, 0xffff, v8
	v_lshlrev_b32_e32 v9, 5, v6
	v_lshlrev_b32_e32 v4, 4, v4
	s_clause 0x1
	global_load_b128 v[88:91], v9, s[10:11]
	global_load_b128 v[84:87], v9, s[10:11] offset:16
	v_lshlrev_b32_e32 v7, 4, v7
	s_clause 0x3
	global_load_b128 v[72:75], v4, s[10:11]
	global_load_b128 v[68:71], v4, s[10:11] offset:16
	global_load_b128 v[80:83], v7, s[10:11]
	global_load_b128 v[76:79], v7, s[10:11] offset:16
	v_lshlrev_b32_e32 v1, 4, v1
	v_add_lshl_u32 v3, v0, v6, 4
	v_lshlrev_b32_e32 v0, 4, v2
	s_waitcnt vmcnt(0) lgkmcnt(0)
	s_waitcnt_vscnt null, 0x0
	s_barrier
	buffer_gl0_inv
	v_mul_f64 v[124:125], v[118:119], v[66:67]
	v_mul_f64 v[126:127], v[116:117], v[66:67]
	;; [unrolled: 1-line block ×16, first 2 shown]
	v_fma_f64 v[116:117], v[116:117], v[64:65], -v[124:125]
	v_fma_f64 v[118:119], v[118:119], v[64:65], v[126:127]
	v_fma_f64 v[112:113], v[112:113], v[60:61], -v[128:129]
	v_fma_f64 v[114:115], v[114:115], v[60:61], v[130:131]
	v_fma_f64 v[104:105], v[104:105], v[88:89], -v[132:133]
	v_fma_f64 v[124:125], v[96:97], v[84:85], -v[134:135]
	v_fma_f64 v[106:107], v[106:107], v[88:89], v[136:137]
	v_fma_f64 v[126:127], v[98:99], v[84:85], v[138:139]
	v_fma_f64 v[108:109], v[108:109], v[72:73], -v[140:141]
	v_fma_f64 v[110:111], v[110:111], v[72:73], v[142:143]
	v_fma_f64 v[100:101], v[100:101], v[68:69], -v[144:145]
	;; [unrolled: 2-line block ×4, first 2 shown]
	v_fma_f64 v[94:95], v[122:123], v[76:77], v[154:155]
	v_add_f64 v[140:141], v[56:57], v[116:117]
	v_add_f64 v[120:121], v[116:117], v[112:113]
	;; [unrolled: 1-line block ×3, first 2 shown]
	v_add_f64 v[142:143], v[118:119], -v[114:115]
	v_add_f64 v[118:119], v[58:59], v[118:119]
	v_add_f64 v[144:145], v[116:117], -v[112:113]
	v_add_f64 v[148:149], v[44:45], v[104:105]
	v_add_f64 v[128:129], v[104:105], v[124:125]
	;; [unrolled: 1-line block ×8, first 2 shown]
	v_add_f64 v[152:153], v[106:107], -v[126:127]
	v_add_f64 v[156:157], v[110:111], -v[102:103]
	v_add_f64 v[136:137], v[96:97], v[92:93]
	v_add_f64 v[138:139], v[98:99], v[94:95]
	v_add_f64 v[158:159], v[108:109], -v[100:101]
	v_fma_f64 v[120:121], v[120:121], -0.5, v[56:57]
	v_fma_f64 v[154:155], v[122:123], -0.5, v[58:59]
	v_add_f64 v[56:57], v[140:141], v[112:113]
	v_add_f64 v[58:59], v[118:119], v[114:115]
	v_fma_f64 v[122:123], v[128:129], -0.5, v[44:45]
	v_add_f64 v[128:129], v[104:105], -v[124:125]
	v_fma_f64 v[130:131], v[130:131], -0.5, v[46:47]
	v_add_f64 v[46:47], v[98:99], -v[94:95]
	v_add_f64 v[100:101], v[116:117], v[100:101]
	v_fma_f64 v[132:133], v[132:133], -0.5, v[52:53]
	v_fma_f64 v[134:135], v[134:135], -0.5, v[54:55]
	v_add_f64 v[54:55], v[96:97], -v[92:93]
	v_add_f64 v[104:105], v[148:149], v[124:125]
	v_fma_f64 v[44:45], v[136:137], -0.5, v[48:49]
	v_fma_f64 v[52:53], v[138:139], -0.5, v[50:51]
	v_add_f64 v[106:107], v[150:151], v[126:127]
	v_add_f64 v[102:103], v[146:147], v[102:103]
	v_fma_f64 v[108:109], v[142:143], s[0:1], v[120:121]
	v_fma_f64 v[112:113], v[142:143], s[8:9], v[120:121]
	;; [unrolled: 1-line block ×8, first 2 shown]
	ds_store_b128 v3, v[104:107]
	ds_store_b128 v3, v[116:119] offset:176
	v_fma_f64 v[128:129], v[156:157], s[8:9], v[132:133]
	v_fma_f64 v[130:131], v[158:159], s[0:1], v[134:135]
	;; [unrolled: 1-line block ×6, first 2 shown]
	scratch_store_b32 off, v3, off offset:232 ; 4-byte Folded Spill
	ds_store_b128 v3, v[120:123] offset:352
	ds_store_b128 v1, v[56:59]
	ds_store_b128 v1, v[108:111] offset:176
	scratch_store_b32 off, v1, off offset:228 ; 4-byte Folded Spill
	ds_store_b128 v1, v[112:115] offset:352
	ds_store_b128 v0, v[100:103]
	ds_store_b128 v0, v[124:127] offset:176
	scratch_store_b32 off, v0, off offset:224 ; 4-byte Folded Spill
	ds_store_b128 v0, v[128:131] offset:352
	s_and_saveexec_b32 s8, vcc_lo
	s_cbranch_execz .LBB0_5
; %bb.4:
	s_clause 0x1
	scratch_load_b32 v0, off, off offset:216
	scratch_load_b32 v1, off, off offset:220
	v_add_f64 v[50:51], v[50:51], v[98:99]
	v_add_f64 v[48:49], v[48:49], v[96:97]
	v_mul_f64 v[54:55], v[54:55], s[0:1]
	v_mul_f64 v[56:57], v[46:47], s[0:1]
	s_delay_alu instid0(VALU_DEP_4) | instskip(NEXT) | instid1(VALU_DEP_4)
	v_add_f64 v[50:51], v[50:51], v[94:95]
	v_add_f64 v[48:49], v[48:49], v[92:93]
	s_delay_alu instid0(VALU_DEP_4) | instskip(NEXT) | instid1(VALU_DEP_4)
	v_add_f64 v[46:47], v[52:53], -v[54:55]
	v_add_f64 v[44:45], v[56:57], v[44:45]
	s_waitcnt vmcnt(0)
	v_mad_u16 v0, v0, 33, v1
	s_delay_alu instid0(VALU_DEP_1) | instskip(NEXT) | instid1(VALU_DEP_1)
	v_and_b32_e32 v0, 0xffff, v0
	v_lshlrev_b32_e32 v0, 4, v0
	ds_store_b128 v0, v[48:51]
	ds_store_b128 v0, v[44:47] offset:176
	ds_store_b128 v0, v[152:155] offset:352
.LBB0_5:
	s_or_b32 exec_lo, exec_lo, s8
	v_and_b32_e32 v0, 0xff, v255
	s_waitcnt lgkmcnt(0)
	s_waitcnt_vscnt null, 0x0
	s_barrier
	buffer_gl0_inv
	s_mov_b32 s26, 0xf8bb580b
	v_mul_lo_u16 v0, 0xf9, v0
	s_mov_b32 s18, 0xbb3a28a1
	s_mov_b32 s16, 0xfd768dbf
	s_mov_b32 s27, 0xbfe14ced
	s_mov_b32 s25, 0xbfed1bb4
	v_lshrrev_b16 v168, 13, v0
	s_mov_b32 s24, 0x8eee2c13
	s_mov_b32 s19, 0xbfe82f19
	;; [unrolled: 1-line block ×4, first 2 shown]
	v_mul_lo_u16 v0, v168, 33
	s_mov_b32 s12, 0xd9c712b6
	s_mov_b32 s14, 0x640f44db
	;; [unrolled: 1-line block ×4, first 2 shown]
	v_sub_nc_u16 v0, v255, v0
	s_mov_b32 s23, 0x3feaeb8c
	s_mov_b32 s13, 0x3fda9628
	s_mov_b32 s15, 0xbfc2375f
	s_mov_b32 s9, 0xbfe4f49e
	v_and_b32_e32 v169, 0xff, v0
	s_mov_b32 s1, 0xbfeeb42a
	s_mov_b32 s29, 0x3fd207e7
	s_mov_b32 s28, s16
	s_mov_b32 s30, s20
	v_mad_u64_u32 v[100:101], null, 0xa0, v169, s[10:11]
	s_mov_b32 s35, 0x3fe14ced
	s_mov_b32 s34, s26
	s_clause 0x3
	global_load_b128 v[0:3], v[100:101], off offset:352
	global_load_b128 v[4:7], v[100:101], off offset:496
	;; [unrolled: 1-line block ×4, first 2 shown]
	ds_load_b128 v[92:95], v204 offset:2112
	ds_load_b128 v[96:99], v204 offset:21120
	ds_load_b128 v[156:159], v204
	s_waitcnt vmcnt(3) lgkmcnt(2)
	v_mul_f64 v[102:103], v[94:95], v[2:3]
	v_mul_f64 v[104:105], v[92:93], v[2:3]
	s_waitcnt vmcnt(2) lgkmcnt(1)
	v_mul_f64 v[106:107], v[96:97], v[6:7]
	v_mul_f64 v[108:109], v[98:99], v[6:7]
	s_clause 0x1
	scratch_store_b128 off, v[0:3], off offset:184
	scratch_store_b128 off, v[4:7], off offset:200
	v_fma_f64 v[164:165], v[92:93], v[0:1], -v[102:103]
	v_fma_f64 v[166:167], v[94:95], v[0:1], v[104:105]
	ds_load_b128 v[92:95], v204 offset:4224
	v_fma_f64 v[116:117], v[98:99], v[4:5], v[106:107]
	v_fma_f64 v[118:119], v[96:97], v[4:5], -v[108:109]
	ds_load_b128 v[96:99], v204 offset:6336
	s_waitcnt vmcnt(1) lgkmcnt(1)
	v_mul_f64 v[102:103], v[94:95], v[54:55]
	v_add_f64 v[196:197], v[166:167], v[116:117]
	v_add_f64 v[176:177], v[164:165], v[118:119]
	s_delay_alu instid0(VALU_DEP_3) | instskip(SKIP_1) | instid1(VALU_DEP_1)
	v_fma_f64 v[124:125], v[92:93], v[52:53], -v[102:103]
	v_mul_f64 v[92:93], v[92:93], v[54:55]
	v_fma_f64 v[126:127], v[94:95], v[52:53], v[92:93]
	ds_load_b128 v[92:95], v204 offset:19008
	ds_load_b128 v[108:111], v204 offset:16896
	s_waitcnt vmcnt(0) lgkmcnt(1)
	v_mul_f64 v[102:103], v[92:93], v[58:59]
	s_delay_alu instid0(VALU_DEP_1) | instskip(SKIP_1) | instid1(VALU_DEP_2)
	v_fma_f64 v[120:121], v[94:95], v[56:57], v[102:103]
	v_mul_f64 v[94:95], v[94:95], v[58:59]
	v_add_f64 v[233:234], v[126:127], v[120:121]
	s_delay_alu instid0(VALU_DEP_2) | instskip(SKIP_4) | instid1(VALU_DEP_1)
	v_fma_f64 v[122:123], v[92:93], v[56:57], -v[94:95]
	s_clause 0x1
	global_load_b128 v[112:115], v[100:101], off offset:384
	global_load_b128 v[92:95], v[100:101], off offset:400
	v_add_f64 v[231:232], v[124:125], -v[122:123]
	v_mul_f64 v[235:236], v[231:232], s[18:19]
	v_mul_f64 v[12:13], v[231:232], s[28:29]
	v_mul_f64 v[18:19], v[231:232], s[24:25]
	v_mul_f64 v[32:33], v[231:232], s[30:31]
	s_delay_alu instid0(VALU_DEP_3) | instskip(SKIP_1) | instid1(VALU_DEP_3)
	v_fma_f64 v[14:15], v[233:234], s[0:1], v[12:13]
	v_fma_f64 v[12:13], v[233:234], s[0:1], -v[12:13]
	v_fma_f64 v[34:35], v[233:234], s[14:15], v[32:33]
	v_fma_f64 v[32:33], v[233:234], s[14:15], -v[32:33]
	s_waitcnt vmcnt(1)
	v_mul_f64 v[102:103], v[98:99], v[114:115]
	s_delay_alu instid0(VALU_DEP_1) | instskip(SKIP_1) | instid1(VALU_DEP_1)
	v_fma_f64 v[132:133], v[96:97], v[112:113], -v[102:103]
	v_mul_f64 v[96:97], v[96:97], v[114:115]
	v_fma_f64 v[134:135], v[98:99], v[112:113], v[96:97]
	s_clause 0x1
	global_load_b128 v[104:107], v[100:101], off offset:464
	global_load_b128 v[96:99], v[100:101], off offset:448
	s_waitcnt vmcnt(1) lgkmcnt(0)
	v_mul_f64 v[102:103], v[108:109], v[106:107]
	s_delay_alu instid0(VALU_DEP_1) | instskip(SKIP_1) | instid1(VALU_DEP_2)
	v_fma_f64 v[128:129], v[110:111], v[104:105], v[102:103]
	v_mul_f64 v[102:103], v[110:111], v[106:107]
	v_add_f64 v[237:238], v[134:135], -v[128:129]
	s_delay_alu instid0(VALU_DEP_2)
	v_fma_f64 v[130:131], v[108:109], v[104:105], -v[102:103]
	ds_load_b128 v[108:111], v204 offset:8448
	ds_load_b128 v[146:149], v204 offset:10560
	v_add_f64 v[245:246], v[134:135], v[128:129]
	s_waitcnt lgkmcnt(1)
	v_mul_f64 v[102:103], v[110:111], v[94:95]
	v_mul_f64 v[241:242], v[237:238], s[28:29]
	v_add_f64 v[239:240], v[132:133], v[130:131]
	v_add_f64 v[243:244], v[132:133], -v[130:131]
	v_mul_f64 v[36:37], v[237:238], s[26:27]
	v_fma_f64 v[136:137], v[108:109], v[92:93], -v[102:103]
	v_mul_f64 v[102:103], v[108:109], v[94:95]
	s_delay_alu instid0(VALU_DEP_4) | instskip(SKIP_2) | instid1(VALU_DEP_4)
	v_mul_f64 v[247:248], v[243:244], s[28:29]
	v_mul_f64 v[40:41], v[243:244], s[26:27]
	v_fma_f64 v[38:39], v[239:240], s[22:23], -v[36:37]
	v_fma_f64 v[140:141], v[110:111], v[92:93], v[102:103]
	ds_load_b128 v[108:111], v204 offset:14784
	ds_load_b128 v[160:163], v204 offset:12672
	v_fma_f64 v[42:43], v[245:246], s[22:23], v[40:41]
	s_waitcnt vmcnt(0) lgkmcnt(1)
	v_mul_f64 v[102:103], v[110:111], v[98:99]
	s_delay_alu instid0(VALU_DEP_1) | instskip(SKIP_1) | instid1(VALU_DEP_2)
	v_fma_f64 v[138:139], v[108:109], v[96:97], -v[102:103]
	v_mul_f64 v[102:103], v[108:109], v[98:99]
	v_add_f64 v[251:252], v[136:137], v[138:139]
	s_delay_alu instid0(VALU_DEP_2)
	v_fma_f64 v[142:143], v[110:111], v[96:97], v[102:103]
	s_clause 0x1
	global_load_b128 v[108:111], v[100:101], off offset:416
	global_load_b128 v[100:103], v[100:101], off offset:432
	v_add_f64 v[207:208], v[136:137], -v[138:139]
	s_waitcnt vmcnt(0) lgkmcnt(0)
	s_waitcnt_vscnt null, 0x0
	s_barrier
	buffer_gl0_inv
	v_add_f64 v[249:250], v[140:141], -v[142:143]
	v_add_f64 v[210:211], v[140:141], v[142:143]
	v_mul_f64 v[212:213], v[207:208], s[30:31]
	v_mul_f64 v[28:29], v[207:208], s[26:27]
	;; [unrolled: 1-line block ×4, first 2 shown]
	s_delay_alu instid0(VALU_DEP_3) | instskip(SKIP_2) | instid1(VALU_DEP_2)
	v_fma_f64 v[30:31], v[210:211], s[22:23], v[28:29]
	v_mul_f64 v[144:145], v[148:149], v[110:111]
	v_mul_f64 v[150:151], v[160:161], v[102:103]
	v_fma_f64 v[144:145], v[146:147], v[108:109], -v[144:145]
	v_mul_f64 v[146:147], v[146:147], v[110:111]
	s_delay_alu instid0(VALU_DEP_3) | instskip(NEXT) | instid1(VALU_DEP_2)
	v_fma_f64 v[150:151], v[162:163], v[100:101], v[150:151]
	v_fma_f64 v[146:147], v[148:149], v[108:109], v[146:147]
	v_mul_f64 v[148:149], v[162:163], v[102:103]
	s_delay_alu instid0(VALU_DEP_2) | instskip(NEXT) | instid1(VALU_DEP_2)
	v_add_f64 v[0:1], v[146:147], -v[150:151]
	v_fma_f64 v[148:149], v[160:161], v[100:101], -v[148:149]
	v_add_f64 v[160:161], v[166:167], -v[116:117]
	v_add_f64 v[8:9], v[146:147], v[150:151]
	v_add_f64 v[166:167], v[158:159], v[166:167]
	v_mul_f64 v[4:5], v[0:1], s[34:35]
	v_add_f64 v[2:3], v[144:145], v[148:149]
	v_mul_f64 v[162:163], v[160:161], s[26:27]
	v_mul_f64 v[170:171], v[160:161], s[24:25]
	;; [unrolled: 1-line block ×6, first 2 shown]
	v_fma_f64 v[6:7], v[2:3], s[22:23], -v[4:5]
	v_fma_f64 v[178:179], v[176:177], s[22:23], -v[162:163]
	v_fma_f64 v[162:163], v[176:177], s[22:23], v[162:163]
	v_fma_f64 v[180:181], v[176:177], s[12:13], -v[170:171]
	v_fma_f64 v[170:171], v[176:177], s[12:13], v[170:171]
	v_fma_f64 v[182:183], v[176:177], s[14:15], -v[172:173]
	v_fma_f64 v[172:173], v[176:177], s[14:15], v[172:173]
	v_fma_f64 v[184:185], v[176:177], s[8:9], -v[174:175]
	v_fma_f64 v[174:175], v[176:177], s[8:9], v[174:175]
	v_fma_f64 v[186:187], v[176:177], s[0:1], -v[160:161]
	v_fma_f64 v[160:161], v[176:177], s[0:1], v[160:161]
	v_add_f64 v[176:177], v[164:165], -v[118:119]
	v_add_f64 v[164:165], v[156:157], v[164:165]
	v_fma_f64 v[50:51], v[2:3], s[14:15], -v[48:49]
	v_fma_f64 v[4:5], v[2:3], s[22:23], v[4:5]
	v_add_f64 v[223:224], v[156:157], v[162:163]
	v_add_f64 v[162:163], v[156:157], v[180:181]
	v_add_f64 v[180:181], v[156:157], v[182:183]
	v_add_f64 v[227:228], v[156:157], v[172:173]
	v_add_f64 v[184:185], v[156:157], v[184:185]
	v_fma_f64 v[172:173], v[239:240], s[0:1], -v[241:242]
	v_add_f64 v[186:187], v[156:157], v[186:187]
	v_mul_f64 v[190:191], v[176:177], s[24:25]
	v_mul_f64 v[192:193], v[176:177], s[20:21]
	;; [unrolled: 1-line block ×5, first 2 shown]
	v_fma_f64 v[215:216], v[196:197], s[12:13], v[190:191]
	v_fma_f64 v[190:191], v[196:197], s[12:13], -v[190:191]
	v_fma_f64 v[217:218], v[196:197], s[14:15], v[192:193]
	v_fma_f64 v[198:199], v[196:197], s[22:23], -v[188:189]
	;; [unrolled: 2-line block ×5, first 2 shown]
	v_add_f64 v[196:197], v[156:157], v[178:179]
	v_add_f64 v[178:179], v[158:159], v[215:216]
	;; [unrolled: 1-line block ×7, first 2 shown]
	v_add_f64 v[160:161], v[126:127], -v[120:121]
	v_add_f64 v[225:226], v[158:159], v[188:189]
	v_add_f64 v[229:230], v[158:159], v[192:193]
	;; [unrolled: 1-line block ×9, first 2 shown]
	v_mul_f64 v[221:222], v[160:161], s[18:19]
	v_mul_f64 v[16:17], v[160:161], s[24:25]
	s_mov_b32 s25, 0x3fed1bb4
	v_add_f64 v[34:35], v[34:35], v[188:189]
	v_mul_f64 v[24:25], v[243:244], s[24:25]
	v_mul_f64 v[20:21], v[237:238], s[24:25]
	;; [unrolled: 1-line block ×5, first 2 shown]
	v_add_f64 v[32:33], v[32:33], v[192:193]
	v_add_f64 v[12:13], v[12:13], v[229:230]
	v_fma_f64 v[170:171], v[219:220], s[8:9], -v[221:222]
	v_add_f64 v[34:35], v[42:43], v[34:35]
	v_fma_f64 v[26:27], v[245:246], s[12:13], v[24:25]
	v_fma_f64 v[22:23], v[239:240], s[12:13], -v[20:21]
	v_mul_f64 v[42:43], v[249:250], s[16:17]
	v_fma_f64 v[20:21], v[239:240], s[12:13], v[20:21]
	v_fma_f64 v[46:47], v[210:211], s[12:13], v[44:45]
	v_fma_f64 v[44:45], v[210:211], s[12:13], -v[44:45]
	v_add_f64 v[162:163], v[170:171], v[162:163]
	v_fma_f64 v[170:171], v[233:234], s[8:9], v[235:236]
	v_add_f64 v[14:15], v[26:27], v[14:15]
	v_mul_f64 v[26:27], v[249:250], s[26:27]
	s_delay_alu instid0(VALU_DEP_4) | instskip(NEXT) | instid1(VALU_DEP_4)
	v_add_f64 v[162:163], v[172:173], v[162:163]
	v_add_f64 v[170:171], v[170:171], v[178:179]
	v_fma_f64 v[172:173], v[245:246], s[0:1], v[247:248]
	v_add_f64 v[14:15], v[30:31], v[14:15]
	v_mul_f64 v[30:31], v[0:1], s[18:19]
	v_mul_f64 v[0:1], v[0:1], s[16:17]
	s_delay_alu instid0(VALU_DEP_4) | instskip(SKIP_1) | instid1(VALU_DEP_1)
	v_add_f64 v[170:171], v[172:173], v[170:171]
	v_fma_f64 v[172:173], v[251:252], s[14:15], -v[253:254]
	v_add_f64 v[162:163], v[172:173], v[162:163]
	v_fma_f64 v[172:173], v[210:211], s[14:15], v[212:213]
	s_delay_alu instid0(VALU_DEP_1) | instskip(NEXT) | instid1(VALU_DEP_3)
	v_add_f64 v[172:173], v[172:173], v[170:171]
	v_add_f64 v[170:171], v[6:7], v[162:163]
	v_add_f64 v[6:7], v[144:145], -v[148:149]
	s_delay_alu instid0(VALU_DEP_1) | instskip(NEXT) | instid1(VALU_DEP_1)
	v_mul_f64 v[10:11], v[6:7], s[34:35]
	v_fma_f64 v[162:163], v[8:9], s[22:23], v[10:11]
	v_fma_f64 v[10:11], v[8:9], s[22:23], -v[10:11]
	s_delay_alu instid0(VALU_DEP_2) | instskip(SKIP_1) | instid1(VALU_DEP_1)
	v_add_f64 v[172:173], v[162:163], v[172:173]
	v_mul_f64 v[162:163], v[160:161], s[28:29]
	v_fma_f64 v[174:175], v[219:220], s[0:1], -v[162:163]
	s_delay_alu instid0(VALU_DEP_1) | instskip(NEXT) | instid1(VALU_DEP_1)
	v_add_f64 v[174:175], v[174:175], v[180:181]
	v_add_f64 v[22:23], v[22:23], v[174:175]
	v_fma_f64 v[174:175], v[251:252], s[22:23], -v[26:27]
	s_delay_alu instid0(VALU_DEP_1) | instskip(SKIP_1) | instid1(VALU_DEP_1)
	v_add_f64 v[22:23], v[174:175], v[22:23]
	v_fma_f64 v[174:175], v[2:3], s[8:9], -v[30:31]
	v_add_f64 v[174:175], v[174:175], v[22:23]
	v_mul_f64 v[22:23], v[6:7], s[18:19]
	s_delay_alu instid0(VALU_DEP_1) | instskip(SKIP_1) | instid1(VALU_DEP_2)
	v_fma_f64 v[176:177], v[8:9], s[8:9], v[22:23]
	v_fma_f64 v[22:23], v[8:9], s[8:9], -v[22:23]
	v_add_f64 v[176:177], v[176:177], v[14:15]
	v_mul_f64 v[14:15], v[160:161], s[30:31]
	s_delay_alu instid0(VALU_DEP_1) | instskip(SKIP_1) | instid1(VALU_DEP_2)
	v_fma_f64 v[178:179], v[219:220], s[14:15], -v[14:15]
	v_fma_f64 v[14:15], v[219:220], s[14:15], v[14:15]
	v_add_f64 v[178:179], v[178:179], v[184:185]
	v_fma_f64 v[184:185], v[239:240], s[8:9], -v[188:189]
	s_delay_alu instid0(VALU_DEP_3) | instskip(NEXT) | instid1(VALU_DEP_3)
	v_add_f64 v[14:15], v[14:15], v[190:191]
	v_add_f64 v[38:39], v[38:39], v[178:179]
	v_fma_f64 v[178:179], v[251:252], s[0:1], -v[42:43]
	s_delay_alu instid0(VALU_DEP_1) | instskip(SKIP_1) | instid1(VALU_DEP_1)
	v_add_f64 v[38:39], v[178:179], v[38:39]
	v_fma_f64 v[178:179], v[210:211], s[0:1], v[200:201]
	v_add_f64 v[34:35], v[178:179], v[34:35]
	v_fma_f64 v[178:179], v[2:3], s[12:13], -v[202:203]
	s_delay_alu instid0(VALU_DEP_1) | instskip(SKIP_1) | instid1(VALU_DEP_1)
	v_add_f64 v[178:179], v[178:179], v[38:39]
	v_mul_f64 v[38:39], v[6:7], s[24:25]
	v_fma_f64 v[180:181], v[8:9], s[12:13], v[38:39]
	s_delay_alu instid0(VALU_DEP_1) | instskip(SKIP_1) | instid1(VALU_DEP_1)
	v_add_f64 v[180:181], v[180:181], v[34:35]
	v_mul_f64 v[34:35], v[160:161], s[34:35]
	v_fma_f64 v[160:161], v[219:220], s[22:23], -v[34:35]
	v_fma_f64 v[34:35], v[219:220], s[22:23], v[34:35]
	s_delay_alu instid0(VALU_DEP_2) | instskip(SKIP_2) | instid1(VALU_DEP_4)
	v_add_f64 v[160:161], v[160:161], v[186:187]
	v_mul_f64 v[186:187], v[231:232], s[34:35]
	v_mul_f64 v[231:232], v[249:250], s[24:25]
	v_add_f64 v[34:35], v[34:35], v[156:157]
	v_fma_f64 v[156:157], v[239:240], s[8:9], v[188:189]
	v_add_f64 v[160:161], v[184:185], v[160:161]
	v_fma_f64 v[182:183], v[233:234], s[22:23], v[186:187]
	s_delay_alu instid0(VALU_DEP_3) | instskip(NEXT) | instid1(VALU_DEP_2)
	v_add_f64 v[34:35], v[156:157], v[34:35]
	v_add_f64 v[182:183], v[182:183], v[194:195]
	v_mul_f64 v[194:195], v[243:244], s[18:19]
	s_delay_alu instid0(VALU_DEP_1) | instskip(SKIP_1) | instid1(VALU_DEP_2)
	v_fma_f64 v[184:185], v[245:246], s[8:9], v[194:195]
	v_fma_f64 v[156:157], v[245:246], s[8:9], -v[194:195]
	v_add_f64 v[182:183], v[184:185], v[182:183]
	v_fma_f64 v[184:185], v[251:252], s[12:13], -v[231:232]
	s_delay_alu instid0(VALU_DEP_2) | instskip(NEXT) | instid1(VALU_DEP_2)
	v_add_f64 v[46:47], v[46:47], v[182:183]
	v_add_f64 v[160:161], v[184:185], v[160:161]
	s_delay_alu instid0(VALU_DEP_1) | instskip(SKIP_2) | instid1(VALU_DEP_2)
	v_add_f64 v[182:183], v[50:51], v[160:161]
	v_mul_f64 v[50:51], v[6:7], s[20:21]
	v_mul_f64 v[6:7], v[6:7], s[16:17]
	v_fma_f64 v[160:161], v[8:9], s[14:15], v[50:51]
	s_delay_alu instid0(VALU_DEP_1) | instskip(SKIP_1) | instid1(VALU_DEP_1)
	v_add_f64 v[184:185], v[160:161], v[46:47]
	v_fma_f64 v[46:47], v[233:234], s[22:23], -v[186:187]
	v_add_f64 v[46:47], v[46:47], v[158:159]
	s_delay_alu instid0(VALU_DEP_1) | instskip(SKIP_1) | instid1(VALU_DEP_2)
	v_add_f64 v[46:47], v[156:157], v[46:47]
	v_fma_f64 v[156:157], v[251:252], s[12:13], v[231:232]
	v_add_f64 v[44:45], v[44:45], v[46:47]
	s_delay_alu instid0(VALU_DEP_2) | instskip(SKIP_2) | instid1(VALU_DEP_2)
	v_add_f64 v[34:35], v[156:157], v[34:35]
	v_fma_f64 v[46:47], v[2:3], s[14:15], v[48:49]
	v_fma_f64 v[48:49], v[8:9], s[14:15], -v[50:51]
	v_add_f64 v[186:187], v[46:47], v[34:35]
	v_fma_f64 v[34:35], v[239:240], s[22:23], v[36:37]
	v_fma_f64 v[36:37], v[8:9], s[12:13], -v[38:39]
	s_delay_alu instid0(VALU_DEP_4) | instskip(NEXT) | instid1(VALU_DEP_3)
	v_add_f64 v[188:189], v[48:49], v[44:45]
	v_add_f64 v[14:15], v[34:35], v[14:15]
	v_fma_f64 v[34:35], v[245:246], s[22:23], -v[40:41]
	s_delay_alu instid0(VALU_DEP_1) | instskip(SKIP_1) | instid1(VALU_DEP_1)
	v_add_f64 v[32:33], v[34:35], v[32:33]
	v_fma_f64 v[34:35], v[251:252], s[0:1], v[42:43]
	v_add_f64 v[14:15], v[34:35], v[14:15]
	v_fma_f64 v[34:35], v[210:211], s[0:1], -v[200:201]
	s_delay_alu instid0(VALU_DEP_1) | instskip(SKIP_1) | instid1(VALU_DEP_2)
	v_add_f64 v[32:33], v[34:35], v[32:33]
	v_fma_f64 v[34:35], v[2:3], s[12:13], v[202:203]
	v_add_f64 v[192:193], v[36:37], v[32:33]
	s_delay_alu instid0(VALU_DEP_2) | instskip(SKIP_1) | instid1(VALU_DEP_1)
	v_add_f64 v[190:191], v[34:35], v[14:15]
	v_fma_f64 v[14:15], v[219:220], s[0:1], v[162:163]
	v_add_f64 v[14:15], v[14:15], v[227:228]
	s_delay_alu instid0(VALU_DEP_1) | instskip(SKIP_1) | instid1(VALU_DEP_1)
	v_add_f64 v[14:15], v[20:21], v[14:15]
	v_fma_f64 v[20:21], v[245:246], s[12:13], -v[24:25]
	v_add_f64 v[12:13], v[20:21], v[12:13]
	v_fma_f64 v[20:21], v[251:252], s[22:23], v[26:27]
	s_delay_alu instid0(VALU_DEP_1) | instskip(SKIP_1) | instid1(VALU_DEP_1)
	v_add_f64 v[14:15], v[20:21], v[14:15]
	v_fma_f64 v[20:21], v[210:211], s[22:23], -v[28:29]
	v_add_f64 v[12:13], v[20:21], v[12:13]
	v_fma_f64 v[20:21], v[2:3], s[8:9], v[30:31]
	s_delay_alu instid0(VALU_DEP_2) | instskip(SKIP_1) | instid1(VALU_DEP_3)
	v_add_f64 v[158:159], v[22:23], v[12:13]
	v_fma_f64 v[12:13], v[219:220], s[8:9], v[221:222]
	v_add_f64 v[156:157], v[20:21], v[14:15]
	v_fma_f64 v[14:15], v[233:234], s[8:9], -v[235:236]
	v_fma_f64 v[20:21], v[239:240], s[0:1], v[241:242]
	s_delay_alu instid0(VALU_DEP_4) | instskip(NEXT) | instid1(VALU_DEP_3)
	v_add_f64 v[12:13], v[12:13], v[215:216]
	v_add_f64 v[14:15], v[14:15], v[217:218]
	s_delay_alu instid0(VALU_DEP_2) | instskip(SKIP_1) | instid1(VALU_DEP_1)
	v_add_f64 v[12:13], v[20:21], v[12:13]
	v_fma_f64 v[20:21], v[245:246], s[0:1], -v[247:248]
	v_add_f64 v[14:15], v[20:21], v[14:15]
	v_fma_f64 v[20:21], v[251:252], s[14:15], v[253:254]
	s_delay_alu instid0(VALU_DEP_1) | instskip(SKIP_1) | instid1(VALU_DEP_2)
	v_add_f64 v[12:13], v[20:21], v[12:13]
	v_fma_f64 v[20:21], v[210:211], s[14:15], -v[212:213]
	v_add_f64 v[160:161], v[4:5], v[12:13]
	s_delay_alu instid0(VALU_DEP_2) | instskip(SKIP_2) | instid1(VALU_DEP_3)
	v_add_f64 v[14:15], v[20:21], v[14:15]
	v_fma_f64 v[4:5], v[219:220], s[12:13], -v[16:17]
	v_mul_f64 v[12:13], v[237:238], s[20:21]
	v_add_f64 v[162:163], v[10:11], v[14:15]
	s_delay_alu instid0(VALU_DEP_3) | instskip(NEXT) | instid1(VALU_DEP_3)
	v_add_f64 v[4:5], v[4:5], v[196:197]
	v_fma_f64 v[14:15], v[239:240], s[14:15], -v[12:13]
	v_fma_f64 v[10:11], v[233:234], s[12:13], v[18:19]
	v_fma_f64 v[12:13], v[239:240], s[14:15], v[12:13]
	s_delay_alu instid0(VALU_DEP_3) | instskip(SKIP_1) | instid1(VALU_DEP_4)
	v_add_f64 v[4:5], v[14:15], v[4:5]
	v_mul_f64 v[14:15], v[243:244], s[20:21]
	v_add_f64 v[10:11], v[10:11], v[225:226]
	s_delay_alu instid0(VALU_DEP_2) | instskip(SKIP_1) | instid1(VALU_DEP_2)
	v_fma_f64 v[20:21], v[245:246], s[14:15], v[14:15]
	v_fma_f64 v[14:15], v[245:246], s[14:15], -v[14:15]
	v_add_f64 v[10:11], v[20:21], v[10:11]
	v_mul_f64 v[20:21], v[249:250], s[18:19]
	s_delay_alu instid0(VALU_DEP_1) | instskip(NEXT) | instid1(VALU_DEP_1)
	v_fma_f64 v[22:23], v[251:252], s[8:9], -v[20:21]
	v_add_f64 v[4:5], v[22:23], v[4:5]
	v_mul_f64 v[22:23], v[207:208], s[18:19]
	s_delay_alu instid0(VALU_DEP_1) | instskip(NEXT) | instid1(VALU_DEP_1)
	v_fma_f64 v[24:25], v[210:211], s[8:9], v[22:23]
	v_add_f64 v[10:11], v[24:25], v[10:11]
	v_fma_f64 v[24:25], v[2:3], s[0:1], -v[0:1]
	v_fma_f64 v[0:1], v[2:3], s[0:1], v[0:1]
	v_fma_f64 v[2:3], v[8:9], s[0:1], -v[6:7]
	s_delay_alu instid0(VALU_DEP_3) | instskip(SKIP_2) | instid1(VALU_DEP_2)
	v_add_f64 v[194:195], v[24:25], v[4:5]
	v_fma_f64 v[4:5], v[8:9], s[0:1], v[6:7]
	v_cmp_gt_u16_e64 s0, 0x63, v255
	v_add_f64 v[196:197], v[4:5], v[10:11]
	v_add_f64 v[4:5], v[164:165], v[124:125]
	;; [unrolled: 1-line block ×3, first 2 shown]
	s_delay_alu instid0(VALU_DEP_2) | instskip(NEXT) | instid1(VALU_DEP_2)
	v_add_f64 v[4:5], v[4:5], v[132:133]
	v_add_f64 v[10:11], v[10:11], v[134:135]
	s_delay_alu instid0(VALU_DEP_2) | instskip(NEXT) | instid1(VALU_DEP_2)
	v_add_f64 v[4:5], v[4:5], v[136:137]
	v_add_f64 v[10:11], v[10:11], v[140:141]
	;; [unrolled: 3-line block ×8, first 2 shown]
	v_fma_f64 v[4:5], v[219:220], s[12:13], v[16:17]
	v_fma_f64 v[10:11], v[233:234], s[12:13], -v[18:19]
	v_fma_f64 v[16:17], v[251:252], s[8:9], v[20:21]
	v_fma_f64 v[18:19], v[210:211], s[8:9], -v[22:23]
	s_delay_alu instid0(VALU_DEP_4) | instskip(NEXT) | instid1(VALU_DEP_4)
	v_add_f64 v[4:5], v[4:5], v[223:224]
	v_add_f64 v[10:11], v[10:11], v[198:199]
	s_delay_alu instid0(VALU_DEP_2) | instskip(NEXT) | instid1(VALU_DEP_2)
	v_add_f64 v[4:5], v[12:13], v[4:5]
	v_add_f64 v[10:11], v[14:15], v[10:11]
	s_delay_alu instid0(VALU_DEP_2) | instskip(NEXT) | instid1(VALU_DEP_2)
	;; [unrolled: 3-line block ×3, first 2 shown]
	v_add_f64 v[164:165], v[0:1], v[4:5]
	v_add_f64 v[166:167], v[2:3], v[6:7]
	v_and_b32_e32 v0, 0xffff, v168
	s_delay_alu instid0(VALU_DEP_1) | instskip(NEXT) | instid1(VALU_DEP_1)
	v_mul_u32_u24_e32 v0, 0x16b, v0
	v_add_lshl_u32 v213, v0, v169, 4
	ds_store_b128 v213, v[170:173] offset:1056
	ds_store_b128 v213, v[174:177] offset:1584
	;; [unrolled: 1-line block ×7, first 2 shown]
	ds_store_b128 v213, v[118:121]
	ds_store_b128 v213, v[156:159] offset:4224
	ds_store_b128 v213, v[160:163] offset:4752
	;; [unrolled: 1-line block ×3, first 2 shown]
	s_waitcnt lgkmcnt(0)
	s_barrier
	buffer_gl0_inv
	ds_load_b128 v[172:175], v204
	ds_load_b128 v[168:171], v204 offset:2112
	ds_load_b128 v[188:191], v204 offset:5808
	;; [unrolled: 1-line block ×7, first 2 shown]
	s_and_saveexec_b32 s1, s0
	s_cbranch_execz .LBB0_7
; %bb.6:
	ds_load_b128 v[156:159], v204 offset:4224
	ds_load_b128 v[160:163], v204 offset:10032
	;; [unrolled: 1-line block ×4, first 2 shown]
.LBB0_7:
	s_or_b32 exec_lo, exec_lo, s1
	v_mad_u64_u32 v[0:1], null, v255, 48, s[10:11]
	s_delay_alu instid0(VALU_DEP_1) | instskip(NEXT) | instid1(VALU_DEP_1)
	v_add_co_u32 v2, s1, 0x1000, v0
	v_add_co_ci_u32_e64 v3, s1, 0, v1, s1
	v_add_co_u32 v4, s1, 0x1600, v0
	s_delay_alu instid0(VALU_DEP_1) | instskip(SKIP_4) | instid1(VALU_DEP_1)
	v_add_co_ci_u32_e64 v5, s1, 0, v1, s1
	s_clause 0x1
	global_load_b128 v[128:131], v[2:3], off offset:1536
	global_load_b128 v[132:135], v[4:5], off offset:16
	v_add_co_u32 v2, s1, 0x2000, v0
	v_add_co_ci_u32_e64 v3, s1, 0, v1, s1
	v_add_co_u32 v0, s1, 0x2ec0, v0
	s_delay_alu instid0(VALU_DEP_1)
	v_add_co_ci_u32_e64 v1, s1, 0, v1, s1
	s_clause 0x3
	global_load_b128 v[136:139], v[4:5], off offset:32
	global_load_b128 v[140:143], v[2:3], off offset:3776
	;; [unrolled: 1-line block ×4, first 2 shown]
	v_add_nc_u32_e32 v0, 0xffffff9d, v255
	s_delay_alu instid0(VALU_DEP_1) | instskip(NEXT) | instid1(VALU_DEP_1)
	v_cndmask_b32_e64 v0, v0, v214, s0
	v_mul_i32_i24_e32 v1, 48, v0
	v_mul_hi_i32_i24_e32 v0, 48, v0
	s_delay_alu instid0(VALU_DEP_2) | instskip(NEXT) | instid1(VALU_DEP_1)
	v_add_co_u32 v2, s1, s10, v1
	v_add_co_ci_u32_e64 v3, s1, s11, v0, s1
	s_delay_alu instid0(VALU_DEP_2) | instskip(NEXT) | instid1(VALU_DEP_1)
	v_add_co_u32 v0, s1, 0x1000, v2
	v_add_co_ci_u32_e64 v1, s1, 0, v3, s1
	v_add_co_u32 v2, s1, 0x1600, v2
	s_delay_alu instid0(VALU_DEP_1)
	v_add_co_ci_u32_e64 v3, s1, 0, v3, s1
	s_clause 0x2
	global_load_b128 v[116:119], v[0:1], off offset:1536
	global_load_b128 v[124:127], v[2:3], off offset:16
	global_load_b128 v[120:123], v[2:3], off offset:32
	s_waitcnt vmcnt(8) lgkmcnt(5)
	v_mul_f64 v[0:1], v[190:191], v[130:131]
	v_mul_f64 v[2:3], v[188:189], v[130:131]
	s_waitcnt vmcnt(7) lgkmcnt(3)
	v_mul_f64 v[4:5], v[194:195], v[134:135]
	v_mul_f64 v[6:7], v[192:193], v[134:135]
	;; [unrolled: 3-line block ×3, first 2 shown]
	s_waitcnt vmcnt(5)
	v_mul_f64 v[12:13], v[178:179], v[142:143]
	v_mul_f64 v[14:15], v[176:177], v[142:143]
	s_waitcnt vmcnt(4)
	v_mul_f64 v[16:17], v[182:183], v[150:151]
	v_mul_f64 v[18:19], v[180:181], v[150:151]
	s_waitcnt vmcnt(3) lgkmcnt(0)
	v_mul_f64 v[20:21], v[186:187], v[146:147]
	v_mul_f64 v[22:23], v[184:185], v[146:147]
	v_fma_f64 v[0:1], v[188:189], v[128:129], -v[0:1]
	v_fma_f64 v[2:3], v[190:191], v[128:129], v[2:3]
	v_fma_f64 v[4:5], v[192:193], v[132:133], -v[4:5]
	v_fma_f64 v[6:7], v[194:195], v[132:133], v[6:7]
	s_waitcnt vmcnt(2)
	v_mul_f64 v[24:25], v[162:163], v[118:119]
	v_mul_f64 v[26:27], v[160:161], v[118:119]
	s_waitcnt vmcnt(1)
	v_mul_f64 v[28:29], v[166:167], v[126:127]
	v_mul_f64 v[30:31], v[164:165], v[126:127]
	v_fma_f64 v[8:9], v[196:197], v[136:137], -v[8:9]
	v_fma_f64 v[10:11], v[198:199], v[136:137], v[10:11]
	v_fma_f64 v[12:13], v[176:177], v[140:141], -v[12:13]
	v_fma_f64 v[14:15], v[178:179], v[140:141], v[14:15]
	;; [unrolled: 2-line block ×4, first 2 shown]
	s_waitcnt vmcnt(0)
	v_mul_f64 v[32:33], v[152:153], v[122:123]
	v_mul_f64 v[34:35], v[154:155], v[122:123]
	v_add_f64 v[4:5], v[172:173], -v[4:5]
	v_add_f64 v[6:7], v[174:175], -v[6:7]
	v_fma_f64 v[160:161], v[160:161], v[116:117], -v[24:25]
	v_fma_f64 v[162:163], v[162:163], v[116:117], v[26:27]
	v_fma_f64 v[24:25], v[164:165], v[124:125], -v[28:29]
	v_fma_f64 v[30:31], v[166:167], v[124:125], v[30:31]
	v_add_f64 v[8:9], v[0:1], -v[8:9]
	v_add_f64 v[10:11], v[2:3], -v[10:11]
	;; [unrolled: 1-line block ×6, first 2 shown]
	v_fma_f64 v[32:33], v[154:155], v[120:121], v[32:33]
	v_fma_f64 v[34:35], v[152:153], v[120:121], -v[34:35]
	v_fma_f64 v[26:27], v[172:173], 2.0, -v[4:5]
	v_fma_f64 v[28:29], v[174:175], 2.0, -v[6:7]
	v_add_f64 v[164:165], v[156:157], -v[24:25]
	v_add_f64 v[166:167], v[158:159], -v[30:31]
	v_fma_f64 v[0:1], v[0:1], 2.0, -v[8:9]
	v_fma_f64 v[2:3], v[2:3], 2.0, -v[10:11]
	v_add_f64 v[172:173], v[4:5], -v[10:11]
	v_add_f64 v[174:175], v[6:7], v[8:9]
	v_fma_f64 v[36:37], v[168:169], 2.0, -v[16:17]
	v_fma_f64 v[38:39], v[170:171], 2.0, -v[18:19]
	v_fma_f64 v[12:13], v[12:13], 2.0, -v[20:21]
	v_fma_f64 v[14:15], v[14:15], 2.0, -v[22:23]
	v_add_f64 v[170:171], v[162:163], -v[32:33]
	v_add_f64 v[168:169], v[160:161], -v[34:35]
	;; [unrolled: 1-line block ×3, first 2 shown]
	v_add_f64 v[178:179], v[18:19], v[20:21]
	v_add_f64 v[180:181], v[26:27], -v[0:1]
	v_add_f64 v[182:183], v[28:29], -v[2:3]
	v_fma_f64 v[188:189], v[4:5], 2.0, -v[172:173]
	v_fma_f64 v[190:191], v[6:7], 2.0, -v[174:175]
	v_add_f64 v[184:185], v[36:37], -v[12:13]
	v_add_f64 v[186:187], v[38:39], -v[14:15]
	;; [unrolled: 1-line block ×3, first 2 shown]
	v_add_f64 v[154:155], v[166:167], v[168:169]
	v_fma_f64 v[192:193], v[16:17], 2.0, -v[176:177]
	v_fma_f64 v[194:195], v[18:19], 2.0, -v[178:179]
	;; [unrolled: 1-line block ×6, first 2 shown]
	ds_store_b128 v204, v[188:191] offset:5808
	ds_store_b128 v204, v[192:195] offset:7920
	;; [unrolled: 1-line block ×4, first 2 shown]
	ds_store_b128 v204, v[196:199]
	ds_store_b128 v204, v[214:217] offset:2112
	ds_store_b128 v204, v[172:175] offset:17424
	;; [unrolled: 1-line block ×3, first 2 shown]
	s_and_saveexec_b32 s1, s0
	s_cbranch_execz .LBB0_9
; %bb.8:
	v_fma_f64 v[0:1], v[158:159], 2.0, -v[166:167]
	v_fma_f64 v[2:3], v[162:163], 2.0, -v[170:171]
	;; [unrolled: 1-line block ×6, first 2 shown]
	v_add_f64 v[158:159], v[0:1], -v[2:3]
	s_delay_alu instid0(VALU_DEP_4) | instskip(NEXT) | instid1(VALU_DEP_2)
	v_add_f64 v[156:157], v[4:5], -v[6:7]
	v_fma_f64 v[168:169], v[0:1], 2.0, -v[158:159]
	s_delay_alu instid0(VALU_DEP_2)
	v_fma_f64 v[166:167], v[4:5], 2.0, -v[156:157]
	ds_store_b128 v204, v[166:169] offset:4224
	ds_store_b128 v204, v[160:163] offset:10032
	;; [unrolled: 1-line block ×4, first 2 shown]
.LBB0_9:
	s_or_b32 exec_lo, exec_lo, s1
	s_waitcnt lgkmcnt(0)
	s_barrier
	buffer_gl0_inv
	scratch_load_b64 v[0:1], off, off offset:236 ; 8-byte Folded Reload
	s_mov_b32 s20, 0xf8bb580b
	s_mov_b32 s38, 0x8eee2c13
	s_mov_b32 s36, 0x43842ef
	s_mov_b32 s34, 0xfd768dbf
	s_mov_b32 s21, 0xbfe14ced
	s_mov_b32 s39, 0xbfed1bb4
	s_mov_b32 s37, 0xbfefac9e
	s_mov_b32 s35, 0xbfd207e7
	s_mov_b32 s16, 0x8764f0ba
	s_mov_b32 s14, 0xd9c712b6
	s_mov_b32 s12, 0x640f44db
	s_mov_b32 s10, 0x7f775887
	s_mov_b32 s8, 0x9bcd5057
	s_mov_b32 s17, 0x3feaeb8c
	s_mov_b32 s15, 0x3fda9628
	s_mov_b32 s13, 0xbfc2375f
	s_mov_b32 s11, 0xbfe4f49e
	s_mov_b32 s9, 0xbfeeb42a
	s_mov_b32 s31, 0x3fe14ced
	s_mov_b32 s29, 0x3fed1bb4
	s_mov_b32 s27, 0x3fefac9e
	s_mov_b32 s25, 0x3fe82f19
	s_mov_b32 s23, 0x3fd207e7
	s_mov_b32 s30, s20
	s_mov_b32 s28, s38
	s_mov_b32 s26, s36
	s_mov_b32 s24, s18
	s_mov_b32 s22, s34
	s_waitcnt vmcnt(0)
	global_load_b128 v[156:159], v[0:1], off offset:2752
	v_add_co_u32 v0, s1, 0x5ac0, v205
	s_delay_alu instid0(VALU_DEP_1) | instskip(SKIP_2) | instid1(VALU_DEP_1)
	v_add_co_ci_u32_e64 v1, s1, 0, v206, s1
	global_load_b128 v[160:163], v[0:1], off offset:2112
	v_add_co_u32 v0, s1, 0x6000, v205
	v_add_co_ci_u32_e64 v1, s1, 0, v206, s1
	global_load_b128 v[164:167], v[0:1], off offset:2880
	v_add_co_u32 v0, s1, 0x7000, v205
	s_delay_alu instid0(VALU_DEP_1) | instskip(SKIP_4) | instid1(VALU_DEP_1)
	v_add_co_ci_u32_e64 v1, s1, 0, v206, s1
	s_clause 0x1
	global_load_b128 v[168:171], v[0:1], off offset:896
	global_load_b128 v[172:175], v[0:1], off offset:3008
	v_add_co_u32 v0, s1, 0x8000, v205
	v_add_co_ci_u32_e64 v1, s1, 0, v206, s1
	global_load_b128 v[176:179], v[0:1], off offset:1024
	ds_load_b128 v[180:183], v204
	ds_load_b128 v[184:187], v204 offset:2112
	s_waitcnt vmcnt(5) lgkmcnt(1)
	v_mul_f64 v[2:3], v[182:183], v[158:159]
	v_mul_f64 v[4:5], v[180:181], v[158:159]
	s_delay_alu instid0(VALU_DEP_2) | instskip(NEXT) | instid1(VALU_DEP_2)
	v_fma_f64 v[180:181], v[180:181], v[156:157], -v[2:3]
	v_fma_f64 v[182:183], v[182:183], v[156:157], v[4:5]
	s_waitcnt vmcnt(4) lgkmcnt(0)
	v_mul_f64 v[2:3], v[186:187], v[162:163]
	v_mul_f64 v[4:5], v[184:185], v[162:163]
	ds_load_b128 v[156:159], v204 offset:4224
	v_fma_f64 v[184:185], v[184:185], v[160:161], -v[2:3]
	v_fma_f64 v[186:187], v[186:187], v[160:161], v[4:5]
	ds_load_b128 v[160:163], v204 offset:6336
	s_waitcnt vmcnt(3) lgkmcnt(1)
	v_mul_f64 v[2:3], v[158:159], v[166:167]
	v_mul_f64 v[4:5], v[156:157], v[166:167]
	s_delay_alu instid0(VALU_DEP_2) | instskip(NEXT) | instid1(VALU_DEP_2)
	v_fma_f64 v[156:157], v[156:157], v[164:165], -v[2:3]
	v_fma_f64 v[158:159], v[158:159], v[164:165], v[4:5]
	s_waitcnt vmcnt(2) lgkmcnt(0)
	v_mul_f64 v[2:3], v[162:163], v[170:171]
	v_mul_f64 v[4:5], v[160:161], v[170:171]
	ds_load_b128 v[164:167], v204 offset:8448
	v_fma_f64 v[160:161], v[160:161], v[168:169], -v[2:3]
	v_fma_f64 v[162:163], v[162:163], v[168:169], v[4:5]
	ds_load_b128 v[168:171], v204 offset:10560
	s_waitcnt vmcnt(1) lgkmcnt(1)
	v_mul_f64 v[2:3], v[166:167], v[174:175]
	v_mul_f64 v[4:5], v[164:165], v[174:175]
	s_delay_alu instid0(VALU_DEP_2) | instskip(NEXT) | instid1(VALU_DEP_2)
	v_fma_f64 v[164:165], v[164:165], v[172:173], -v[2:3]
	v_fma_f64 v[166:167], v[166:167], v[172:173], v[4:5]
	global_load_b128 v[172:175], v[0:1], off offset:3136
	s_waitcnt vmcnt(1) lgkmcnt(0)
	v_mul_f64 v[0:1], v[170:171], v[178:179]
	v_mul_f64 v[2:3], v[168:169], v[178:179]
	v_add_co_u32 v4, s1, 0x9000, v205
	s_delay_alu instid0(VALU_DEP_1) | instskip(NEXT) | instid1(VALU_DEP_4)
	v_add_co_ci_u32_e64 v5, s1, 0, v206, s1
	v_fma_f64 v[168:169], v[168:169], v[176:177], -v[0:1]
	s_delay_alu instid0(VALU_DEP_4)
	v_fma_f64 v[170:171], v[170:171], v[176:177], v[2:3]
	global_load_b128 v[176:179], v[4:5], off offset:1152
	ds_load_b128 v[188:191], v204 offset:12672
	ds_load_b128 v[192:195], v204 offset:14784
	s_waitcnt vmcnt(1) lgkmcnt(1)
	v_mul_f64 v[0:1], v[190:191], v[174:175]
	v_mul_f64 v[2:3], v[188:189], v[174:175]
	s_delay_alu instid0(VALU_DEP_2) | instskip(NEXT) | instid1(VALU_DEP_2)
	v_fma_f64 v[188:189], v[188:189], v[172:173], -v[0:1]
	v_fma_f64 v[190:191], v[190:191], v[172:173], v[2:3]
	s_waitcnt vmcnt(0) lgkmcnt(0)
	v_mul_f64 v[0:1], v[194:195], v[178:179]
	v_mul_f64 v[2:3], v[192:193], v[178:179]
	s_delay_alu instid0(VALU_DEP_2) | instskip(NEXT) | instid1(VALU_DEP_2)
	v_fma_f64 v[172:173], v[192:193], v[176:177], -v[0:1]
	v_fma_f64 v[174:175], v[194:195], v[176:177], v[2:3]
	global_load_b128 v[176:179], v[4:5], off offset:3264
	v_add_co_u32 v0, s1, 0xa000, v205
	s_delay_alu instid0(VALU_DEP_1)
	v_add_co_ci_u32_e64 v1, s1, 0, v206, s1
	global_load_b128 v[192:195], v[0:1], off offset:1280
	ds_load_b128 v[196:199], v204 offset:16896
	ds_load_b128 v[214:217], v204 offset:19008
	s_waitcnt vmcnt(1) lgkmcnt(1)
	v_mul_f64 v[2:3], v[198:199], v[178:179]
	v_mul_f64 v[4:5], v[196:197], v[178:179]
	s_delay_alu instid0(VALU_DEP_2) | instskip(NEXT) | instid1(VALU_DEP_2)
	v_fma_f64 v[196:197], v[196:197], v[176:177], -v[2:3]
	v_fma_f64 v[198:199], v[198:199], v[176:177], v[4:5]
	s_waitcnt vmcnt(0) lgkmcnt(0)
	v_mul_f64 v[2:3], v[216:217], v[194:195]
	v_mul_f64 v[4:5], v[214:215], v[194:195]
	s_delay_alu instid0(VALU_DEP_2) | instskip(NEXT) | instid1(VALU_DEP_2)
	v_fma_f64 v[176:177], v[214:215], v[192:193], -v[2:3]
	v_fma_f64 v[178:179], v[216:217], v[192:193], v[4:5]
	global_load_b128 v[192:195], v[0:1], off offset:3392
	ds_load_b128 v[214:217], v204 offset:21120
	s_waitcnt vmcnt(0) lgkmcnt(0)
	v_mul_f64 v[0:1], v[216:217], v[194:195]
	v_mul_f64 v[2:3], v[214:215], v[194:195]
	s_delay_alu instid0(VALU_DEP_2) | instskip(NEXT) | instid1(VALU_DEP_2)
	v_fma_f64 v[214:215], v[214:215], v[192:193], -v[0:1]
	v_fma_f64 v[216:217], v[216:217], v[192:193], v[2:3]
	ds_store_b128 v204, v[180:183]
	ds_store_b128 v204, v[184:187] offset:2112
	ds_store_b128 v204, v[156:159] offset:4224
	;; [unrolled: 1-line block ×10, first 2 shown]
	s_waitcnt lgkmcnt(0)
	s_barrier
	buffer_gl0_inv
	ds_load_b128 v[156:159], v204
	ds_load_b128 v[160:163], v204 offset:2112
	ds_load_b128 v[164:167], v204 offset:4224
	;; [unrolled: 1-line block ×7, first 2 shown]
	s_waitcnt lgkmcnt(6)
	v_add_f64 v[0:1], v[156:157], v[160:161]
	v_add_f64 v[2:3], v[158:159], v[162:163]
	s_waitcnt lgkmcnt(1)
	v_add_f64 v[4:5], v[176:177], v[180:181]
	v_add_f64 v[6:7], v[178:179], v[182:183]
	v_add_f64 v[8:9], v[176:177], -v[180:181]
	v_add_f64 v[10:11], v[178:179], -v[182:183]
	s_waitcnt lgkmcnt(0)
	v_add_f64 v[12:13], v[172:173], v[184:185]
	v_add_f64 v[14:15], v[174:175], v[186:187]
	v_add_f64 v[16:17], v[174:175], -v[186:187]
	v_add_f64 v[18:19], v[172:173], -v[184:185]
	v_add_f64 v[0:1], v[0:1], v[164:165]
	v_add_f64 v[2:3], v[2:3], v[166:167]
	v_mul_f64 v[236:237], v[6:7], s[10:11]
	v_mul_f64 v[252:253], v[6:7], s[14:15]
	;; [unrolled: 1-line block ×17, first 2 shown]
	v_add_f64 v[0:1], v[0:1], v[168:169]
	v_add_f64 v[2:3], v[2:3], v[170:171]
	s_delay_alu instid0(VALU_DEP_2) | instskip(NEXT) | instid1(VALU_DEP_2)
	v_add_f64 v[0:1], v[0:1], v[172:173]
	v_add_f64 v[2:3], v[2:3], v[174:175]
	s_delay_alu instid0(VALU_DEP_2) | instskip(NEXT) | instid1(VALU_DEP_2)
	v_add_f64 v[0:1], v[0:1], v[176:177]
	v_add_f64 v[2:3], v[2:3], v[178:179]
	ds_load_b128 v[172:175], v204 offset:16896
	ds_load_b128 v[176:179], v204 offset:19008
	s_waitcnt lgkmcnt(1)
	v_add_f64 v[20:21], v[170:171], -v[174:175]
	s_waitcnt lgkmcnt(0)
	v_add_f64 v[28:29], v[166:167], -v[178:179]
	v_add_f64 v[30:31], v[166:167], v[178:179]
	v_add_f64 v[32:33], v[164:165], v[176:177]
	v_add_f64 v[34:35], v[164:165], -v[176:177]
	ds_load_b128 v[164:167], v204 offset:21120
	v_add_f64 v[22:23], v[170:171], v[174:175]
	v_add_f64 v[24:25], v[168:169], v[172:173]
	v_add_f64 v[26:27], v[168:169], -v[172:173]
	s_waitcnt lgkmcnt(0)
	s_barrier
	buffer_gl0_inv
	v_add_f64 v[0:1], v[0:1], v[180:181]
	v_add_f64 v[2:3], v[2:3], v[182:183]
	v_add_f64 v[36:37], v[162:163], -v[166:167]
	v_add_f64 v[38:39], v[162:163], v[166:167]
	v_add_f64 v[40:41], v[160:161], v[164:165]
	v_add_f64 v[42:43], v[160:161], -v[164:165]
	v_mul_f64 v[200:201], v[20:21], s[36:37]
	v_mul_f64 v[196:197], v[28:29], s[38:39]
	;; [unrolled: 1-line block ×16, first 2 shown]
	v_add_f64 v[0:1], v[0:1], v[184:185]
	v_add_f64 v[2:3], v[2:3], v[186:187]
	v_mul_f64 v[44:45], v[36:37], s[36:37]
	v_mul_f64 v[46:47], v[36:37], s[18:19]
	;; [unrolled: 1-line block ×3, first 2 shown]
	v_add_f64 v[0:1], v[0:1], v[172:173]
	v_add_f64 v[2:3], v[2:3], v[174:175]
	v_mul_f64 v[172:173], v[38:39], s[10:11]
	v_mul_f64 v[174:175], v[38:39], s[8:9]
	v_fma_f64 v[160:161], v[40:41], s[12:13], v[44:45]
	v_fma_f64 v[44:45], v[40:41], s[12:13], -v[44:45]
	v_fma_f64 v[162:163], v[40:41], s[10:11], v[46:47]
	v_fma_f64 v[46:47], v[40:41], s[10:11], -v[46:47]
	v_add_f64 v[0:1], v[0:1], v[176:177]
	v_add_f64 v[2:3], v[2:3], v[178:179]
	v_fma_f64 v[178:179], v[42:43], s[26:27], v[170:171]
	v_fma_f64 v[170:171], v[42:43], s[36:37], v[170:171]
	;; [unrolled: 1-line block ×6, first 2 shown]
	v_add_f64 v[44:45], v[156:157], v[44:45]
	v_add_f64 v[186:187], v[156:157], v[162:163]
	;; [unrolled: 1-line block ×5, first 2 shown]
	v_mul_f64 v[0:1], v[36:37], s[20:21]
	v_mul_f64 v[2:3], v[36:37], s[38:39]
	;; [unrolled: 1-line block ×3, first 2 shown]
	v_add_f64 v[178:179], v[158:159], v[178:179]
	v_add_f64 v[180:181], v[158:159], v[180:181]
	;; [unrolled: 1-line block ×5, first 2 shown]
	v_fma_f64 v[170:171], v[24:25], s[8:9], v[214:215]
	v_fma_f64 v[48:49], v[40:41], s[16:17], v[0:1]
	v_fma_f64 v[0:1], v[40:41], s[16:17], -v[0:1]
	v_fma_f64 v[50:51], v[40:41], s[14:15], v[2:3]
	v_fma_f64 v[2:3], v[40:41], s[14:15], -v[2:3]
	;; [unrolled: 2-line block ×3, first 2 shown]
	v_mul_f64 v[40:41], v[38:39], s[14:15]
	v_mul_f64 v[38:39], v[38:39], s[16:17]
	v_add_f64 v[0:1], v[156:157], v[0:1]
	v_add_f64 v[50:51], v[156:157], v[50:51]
	;; [unrolled: 1-line block ×5, first 2 shown]
	v_fma_f64 v[176:177], v[42:43], s[28:29], v[40:41]
	v_fma_f64 v[40:41], v[42:43], s[38:39], v[40:41]
	;; [unrolled: 1-line block ×4, first 2 shown]
	v_add_f64 v[42:43], v[156:157], v[48:49]
	v_add_f64 v[176:177], v[158:159], v[176:177]
	;; [unrolled: 1-line block ×7, first 2 shown]
	v_fma_f64 v[158:159], v[32:33], s[14:15], -v[196:197]
	v_fma_f64 v[174:175], v[34:35], s[34:35], v[224:225]
	s_delay_alu instid0(VALU_DEP_2) | instskip(SKIP_1) | instid1(VALU_DEP_3)
	v_add_f64 v[0:1], v[158:159], v[0:1]
	v_fma_f64 v[158:159], v[34:35], s[38:39], v[198:199]
	v_add_f64 v[174:175], v[174:175], v[178:179]
	v_fma_f64 v[178:179], v[34:35], s[36:37], v[240:241]
	s_delay_alu instid0(VALU_DEP_3) | instskip(SKIP_1) | instid1(VALU_DEP_3)
	v_add_f64 v[48:49], v[158:159], v[48:49]
	v_fma_f64 v[158:159], v[24:25], s[12:13], -v[200:201]
	v_add_f64 v[178:179], v[178:179], v[180:181]
	v_fma_f64 v[180:181], v[24:25], s[16:17], v[242:243]
	s_delay_alu instid0(VALU_DEP_3) | instskip(SKIP_1) | instid1(VALU_DEP_1)
	v_add_f64 v[0:1], v[158:159], v[0:1]
	v_fma_f64 v[158:159], v[26:27], s[36:37], v[202:203]
	v_add_f64 v[48:49], v[158:159], v[48:49]
	v_fma_f64 v[158:159], v[12:13], s[10:11], -v[205:206]
	s_delay_alu instid0(VALU_DEP_1) | instskip(SKIP_1) | instid1(VALU_DEP_1)
	v_add_f64 v[0:1], v[158:159], v[0:1]
	v_fma_f64 v[158:159], v[18:19], s[18:19], v[207:208]
	v_add_f64 v[48:49], v[158:159], v[48:49]
	v_fma_f64 v[158:159], v[4:5], s[8:9], -v[210:211]
	s_delay_alu instid0(VALU_DEP_1) | instskip(SKIP_1) | instid1(VALU_DEP_1)
	v_add_f64 v[160:161], v[158:159], v[0:1]
	v_mul_f64 v[0:1], v[6:7], s[8:9]
	v_fma_f64 v[158:159], v[8:9], s[34:35], v[0:1]
	v_fma_f64 v[0:1], v[8:9], s[22:23], v[0:1]
	s_delay_alu instid0(VALU_DEP_2) | instskip(SKIP_2) | instid1(VALU_DEP_2)
	v_add_f64 v[162:163], v[158:159], v[48:49]
	v_mul_f64 v[48:49], v[28:29], s[18:19]
	v_mul_f64 v[28:29], v[28:29], s[30:31]
	v_fma_f64 v[158:159], v[32:33], s[10:11], v[48:49]
	s_delay_alu instid0(VALU_DEP_1) | instskip(SKIP_2) | instid1(VALU_DEP_3)
	v_add_f64 v[50:51], v[158:159], v[50:51]
	v_mul_f64 v[158:159], v[30:31], s[10:11]
	v_mul_f64 v[30:31], v[30:31], s[16:17]
	v_add_f64 v[50:51], v[170:171], v[50:51]
	s_delay_alu instid0(VALU_DEP_3) | instskip(SKIP_1) | instid1(VALU_DEP_2)
	v_fma_f64 v[168:169], v[34:35], s[24:25], v[158:159]
	v_fma_f64 v[170:171], v[26:27], s[34:35], v[216:217]
	v_add_f64 v[168:169], v[168:169], v[176:177]
	v_fma_f64 v[176:177], v[24:25], s[14:15], v[226:227]
	s_delay_alu instid0(VALU_DEP_2) | instskip(SKIP_1) | instid1(VALU_DEP_1)
	v_add_f64 v[168:169], v[170:171], v[168:169]
	v_fma_f64 v[170:171], v[12:13], s[12:13], v[218:219]
	v_add_f64 v[50:51], v[170:171], v[50:51]
	v_fma_f64 v[170:171], v[18:19], s[36:37], v[220:221]
	s_delay_alu instid0(VALU_DEP_1) | instskip(SKIP_1) | instid1(VALU_DEP_1)
	v_add_f64 v[170:171], v[170:171], v[168:169]
	v_fma_f64 v[168:169], v[4:5], s[16:17], v[222:223]
	v_add_f64 v[168:169], v[168:169], v[50:51]
	v_mul_f64 v[50:51], v[6:7], s[16:17]
	v_mul_f64 v[6:7], v[6:7], s[12:13]
	s_delay_alu instid0(VALU_DEP_2) | instskip(NEXT) | instid1(VALU_DEP_1)
	v_fma_f64 v[172:173], v[8:9], s[20:21], v[50:51]
	v_add_f64 v[170:171], v[172:173], v[170:171]
	v_fma_f64 v[172:173], v[32:33], s[8:9], v[194:195]
	s_delay_alu instid0(VALU_DEP_1) | instskip(SKIP_2) | instid1(VALU_DEP_3)
	v_add_f64 v[172:173], v[172:173], v[184:185]
	v_fma_f64 v[184:185], v[34:35], s[20:21], v[30:31]
	v_fma_f64 v[30:31], v[34:35], s[30:31], v[30:31]
	v_add_f64 v[172:173], v[176:177], v[172:173]
	v_fma_f64 v[176:177], v[26:27], s[38:39], v[228:229]
	s_delay_alu instid0(VALU_DEP_4)
	v_add_f64 v[182:183], v[184:185], v[182:183]
	v_fma_f64 v[184:185], v[24:25], s[10:11], v[20:21]
	v_add_f64 v[30:31], v[30:31], v[156:157]
	v_fma_f64 v[20:21], v[24:25], s[10:11], -v[20:21]
	v_add_f64 v[174:175], v[176:177], v[174:175]
	v_fma_f64 v[176:177], v[12:13], s[16:17], v[230:231]
	s_delay_alu instid0(VALU_DEP_1) | instskip(SKIP_1) | instid1(VALU_DEP_1)
	v_add_f64 v[172:173], v[176:177], v[172:173]
	v_fma_f64 v[176:177], v[18:19], s[30:31], v[232:233]
	v_add_f64 v[174:175], v[176:177], v[174:175]
	v_fma_f64 v[176:177], v[4:5], s[10:11], v[234:235]
	s_delay_alu instid0(VALU_DEP_1) | instskip(SKIP_1) | instid1(VALU_DEP_1)
	v_add_f64 v[172:173], v[176:177], v[172:173]
	v_fma_f64 v[176:177], v[8:9], s[24:25], v[236:237]
	v_add_f64 v[174:175], v[176:177], v[174:175]
	v_fma_f64 v[176:177], v[32:33], s[12:13], v[238:239]
	s_delay_alu instid0(VALU_DEP_1) | instskip(NEXT) | instid1(VALU_DEP_1)
	v_add_f64 v[176:177], v[176:177], v[186:187]
	v_add_f64 v[176:177], v[180:181], v[176:177]
	v_fma_f64 v[180:181], v[26:27], s[30:31], v[244:245]
	s_delay_alu instid0(VALU_DEP_1) | instskip(SKIP_1) | instid1(VALU_DEP_1)
	v_add_f64 v[178:179], v[180:181], v[178:179]
	v_fma_f64 v[180:181], v[12:13], s[8:9], v[246:247]
	v_add_f64 v[176:177], v[180:181], v[176:177]
	v_fma_f64 v[180:181], v[18:19], s[22:23], v[248:249]
	s_delay_alu instid0(VALU_DEP_1) | instskip(SKIP_1) | instid1(VALU_DEP_1)
	v_add_f64 v[178:179], v[180:181], v[178:179]
	v_fma_f64 v[180:181], v[4:5], s[14:15], v[250:251]
	v_add_f64 v[176:177], v[180:181], v[176:177]
	v_fma_f64 v[180:181], v[8:9], s[38:39], v[252:253]
	s_delay_alu instid0(VALU_DEP_1) | instskip(SKIP_2) | instid1(VALU_DEP_2)
	v_add_f64 v[178:179], v[180:181], v[178:179]
	v_fma_f64 v[180:181], v[32:33], s[16:17], v[28:29]
	v_fma_f64 v[28:29], v[32:33], s[16:17], -v[28:29]
	v_add_f64 v[180:181], v[180:181], v[188:189]
	s_delay_alu instid0(VALU_DEP_2) | instskip(NEXT) | instid1(VALU_DEP_2)
	v_add_f64 v[28:29], v[28:29], v[36:37]
	v_add_f64 v[180:181], v[184:185], v[180:181]
	v_fma_f64 v[184:185], v[26:27], s[24:25], v[22:23]
	v_fma_f64 v[22:23], v[26:27], s[18:19], v[22:23]
	s_delay_alu instid0(VALU_DEP_4) | instskip(NEXT) | instid1(VALU_DEP_3)
	v_add_f64 v[20:21], v[20:21], v[28:29]
	v_add_f64 v[182:183], v[184:185], v[182:183]
	v_fma_f64 v[184:185], v[12:13], s[14:15], v[16:17]
	s_delay_alu instid0(VALU_DEP_4) | instskip(SKIP_1) | instid1(VALU_DEP_3)
	v_add_f64 v[22:23], v[22:23], v[30:31]
	v_fma_f64 v[16:17], v[12:13], s[14:15], -v[16:17]
	v_add_f64 v[180:181], v[184:185], v[180:181]
	v_fma_f64 v[184:185], v[18:19], s[38:39], v[14:15]
	v_fma_f64 v[14:15], v[18:19], s[28:29], v[14:15]
	s_delay_alu instid0(VALU_DEP_4) | instskip(NEXT) | instid1(VALU_DEP_3)
	v_add_f64 v[16:17], v[16:17], v[20:21]
	v_add_f64 v[182:183], v[184:185], v[182:183]
	v_fma_f64 v[184:185], v[4:5], s[12:13], v[10:11]
	s_delay_alu instid0(VALU_DEP_4) | instskip(SKIP_1) | instid1(VALU_DEP_3)
	v_add_f64 v[14:15], v[14:15], v[22:23]
	v_fma_f64 v[10:11], v[4:5], s[12:13], -v[10:11]
	v_add_f64 v[180:181], v[184:185], v[180:181]
	v_fma_f64 v[184:185], v[8:9], s[26:27], v[6:7]
	v_fma_f64 v[6:7], v[8:9], s[36:37], v[6:7]
	s_delay_alu instid0(VALU_DEP_2) | instskip(NEXT) | instid1(VALU_DEP_2)
	v_add_f64 v[182:183], v[184:185], v[182:183]
	v_add_f64 v[186:187], v[6:7], v[14:15]
	v_fma_f64 v[6:7], v[32:33], s[12:13], -v[238:239]
	v_add_f64 v[184:185], v[10:11], v[16:17]
	v_fma_f64 v[10:11], v[34:35], s[26:27], v[240:241]
	v_fma_f64 v[14:15], v[24:25], s[16:17], -v[242:243]
	v_fma_f64 v[16:17], v[8:9], s[28:29], v[252:253]
	v_add_f64 v[6:7], v[6:7], v[46:47]
	s_delay_alu instid0(VALU_DEP_4) | instskip(NEXT) | instid1(VALU_DEP_2)
	v_add_f64 v[10:11], v[10:11], v[190:191]
	v_add_f64 v[6:7], v[14:15], v[6:7]
	v_fma_f64 v[14:15], v[26:27], s[20:21], v[244:245]
	s_delay_alu instid0(VALU_DEP_1) | instskip(SKIP_1) | instid1(VALU_DEP_1)
	v_add_f64 v[10:11], v[14:15], v[10:11]
	v_fma_f64 v[14:15], v[12:13], s[8:9], -v[246:247]
	v_add_f64 v[6:7], v[14:15], v[6:7]
	v_fma_f64 v[14:15], v[18:19], s[34:35], v[248:249]
	s_delay_alu instid0(VALU_DEP_1) | instskip(SKIP_1) | instid1(VALU_DEP_2)
	v_add_f64 v[10:11], v[14:15], v[10:11]
	v_fma_f64 v[14:15], v[4:5], s[14:15], -v[250:251]
	v_add_f64 v[190:191], v[16:17], v[10:11]
	s_delay_alu instid0(VALU_DEP_2) | instskip(SKIP_4) | instid1(VALU_DEP_4)
	v_add_f64 v[188:189], v[14:15], v[6:7]
	v_fma_f64 v[6:7], v[32:33], s[8:9], -v[194:195]
	v_fma_f64 v[10:11], v[34:35], s[22:23], v[224:225]
	v_fma_f64 v[14:15], v[24:25], s[14:15], -v[226:227]
	v_fma_f64 v[16:17], v[8:9], s[18:19], v[236:237]
	v_add_f64 v[6:7], v[6:7], v[44:45]
	s_delay_alu instid0(VALU_DEP_4) | instskip(NEXT) | instid1(VALU_DEP_2)
	v_add_f64 v[10:11], v[10:11], v[192:193]
	v_add_f64 v[6:7], v[14:15], v[6:7]
	v_fma_f64 v[14:15], v[26:27], s[28:29], v[228:229]
	s_delay_alu instid0(VALU_DEP_1) | instskip(SKIP_1) | instid1(VALU_DEP_1)
	v_add_f64 v[10:11], v[14:15], v[10:11]
	v_fma_f64 v[14:15], v[12:13], s[16:17], -v[230:231]
	v_add_f64 v[6:7], v[14:15], v[6:7]
	v_fma_f64 v[14:15], v[18:19], s[20:21], v[232:233]
	s_delay_alu instid0(VALU_DEP_1) | instskip(SKIP_1) | instid1(VALU_DEP_2)
	v_add_f64 v[10:11], v[14:15], v[10:11]
	v_fma_f64 v[14:15], v[4:5], s[10:11], -v[234:235]
	v_add_f64 v[194:195], v[16:17], v[10:11]
	s_delay_alu instid0(VALU_DEP_2) | instskip(SKIP_4) | instid1(VALU_DEP_4)
	v_add_f64 v[192:193], v[14:15], v[6:7]
	v_fma_f64 v[6:7], v[32:33], s[10:11], -v[48:49]
	v_fma_f64 v[10:11], v[24:25], s[8:9], -v[214:215]
	v_fma_f64 v[14:15], v[8:9], s[30:31], v[50:51]
	v_fma_f64 v[16:17], v[18:19], s[24:25], v[207:208]
	v_add_f64 v[2:3], v[6:7], v[2:3]
	v_fma_f64 v[6:7], v[34:35], s[18:19], v[158:159]
	s_delay_alu instid0(VALU_DEP_2) | instskip(NEXT) | instid1(VALU_DEP_2)
	v_add_f64 v[2:3], v[10:11], v[2:3]
	v_add_f64 v[6:7], v[6:7], v[40:41]
	v_fma_f64 v[10:11], v[26:27], s[22:23], v[216:217]
	s_delay_alu instid0(VALU_DEP_1) | instskip(SKIP_2) | instid1(VALU_DEP_2)
	v_add_f64 v[6:7], v[10:11], v[6:7]
	v_fma_f64 v[10:11], v[12:13], s[12:13], -v[218:219]
	v_fma_f64 v[12:13], v[12:13], s[10:11], v[205:206]
	v_add_f64 v[2:3], v[10:11], v[2:3]
	v_fma_f64 v[10:11], v[18:19], s[26:27], v[220:221]
	s_delay_alu instid0(VALU_DEP_1) | instskip(SKIP_2) | instid1(VALU_DEP_3)
	v_add_f64 v[6:7], v[10:11], v[6:7]
	v_fma_f64 v[10:11], v[4:5], s[16:17], -v[222:223]
	v_fma_f64 v[4:5], v[4:5], s[8:9], v[210:211]
	v_add_f64 v[158:159], v[14:15], v[6:7]
	s_delay_alu instid0(VALU_DEP_3) | instskip(SKIP_4) | instid1(VALU_DEP_4)
	v_add_f64 v[156:157], v[10:11], v[2:3]
	v_fma_f64 v[2:3], v[32:33], s[14:15], v[196:197]
	v_fma_f64 v[6:7], v[34:35], s[28:29], v[198:199]
	;; [unrolled: 1-line block ×4, first 2 shown]
	v_add_f64 v[2:3], v[2:3], v[42:43]
	s_delay_alu instid0(VALU_DEP_4) | instskip(NEXT) | instid1(VALU_DEP_2)
	v_add_f64 v[6:7], v[6:7], v[38:39]
	v_add_f64 v[2:3], v[10:11], v[2:3]
	s_delay_alu instid0(VALU_DEP_2) | instskip(NEXT) | instid1(VALU_DEP_2)
	v_add_f64 v[6:7], v[14:15], v[6:7]
	v_add_f64 v[2:3], v[12:13], v[2:3]
	s_delay_alu instid0(VALU_DEP_2) | instskip(NEXT) | instid1(VALU_DEP_2)
	v_add_f64 v[6:7], v[16:17], v[6:7]
	v_add_f64 v[196:197], v[4:5], v[2:3]
	s_delay_alu instid0(VALU_DEP_2)
	v_add_f64 v[198:199], v[0:1], v[6:7]
	ds_store_b128 v209, v[168:171] offset:32
	ds_store_b128 v209, v[172:175] offset:48
	;; [unrolled: 1-line block ×10, first 2 shown]
	ds_store_b128 v209, v[164:167]
	s_waitcnt lgkmcnt(0)
	s_barrier
	buffer_gl0_inv
	ds_load_b128 v[168:171], v204
	ds_load_b128 v[164:167], v204 offset:2112
	ds_load_b128 v[184:187], v204 offset:15488
	;; [unrolled: 1-line block ×8, first 2 shown]
	s_and_saveexec_b32 s1, vcc_lo
	s_cbranch_execz .LBB0_11
; %bb.10:
	ds_load_b128 v[156:159], v204 offset:6336
	ds_load_b128 v[160:163], v204 offset:14080
	;; [unrolled: 1-line block ×3, first 2 shown]
.LBB0_11:
	s_or_b32 exec_lo, exec_lo, s1
	s_waitcnt lgkmcnt(4)
	v_mul_f64 v[2:3], v[90:91], v[196:197]
	v_mul_f64 v[6:7], v[86:87], v[184:185]
	v_mul_f64 v[0:1], v[90:91], v[198:199]
	v_mul_f64 v[4:5], v[86:87], v[186:187]
	s_waitcnt lgkmcnt(1)
	v_mul_f64 v[26:27], v[82:83], v[160:161]
	s_waitcnt lgkmcnt(0)
	v_mul_f64 v[20:21], v[70:71], v[182:183]
	v_mul_f64 v[22:23], v[70:71], v[180:181]
	;; [unrolled: 1-line block ×6, first 2 shown]
	s_mov_b32 s10, 0xe8584caa
	s_mov_b32 s11, 0xbfebb67a
	;; [unrolled: 1-line block ×4, first 2 shown]
	v_mul_f64 v[28:29], v[78:79], v[154:155]
	s_barrier
	buffer_gl0_inv
	v_mul_f64 v[12:13], v[62:63], v[178:179]
	v_mul_f64 v[14:15], v[62:63], v[176:177]
	;; [unrolled: 1-line block ×4, first 2 shown]
	v_fma_f64 v[2:3], v[88:89], v[198:199], -v[2:3]
	v_fma_f64 v[6:7], v[84:85], v[186:187], -v[6:7]
	v_fma_f64 v[0:1], v[88:89], v[196:197], v[0:1]
	v_fma_f64 v[4:5], v[84:85], v[184:185], v[4:5]
	v_fma_f64 v[70:71], v[80:81], v[162:163], -v[26:27]
	v_fma_f64 v[20:21], v[68:69], v[180:181], v[20:21]
	v_fma_f64 v[22:23], v[68:69], v[182:183], -v[22:23]
	v_fma_f64 v[66:67], v[80:81], v[160:161], v[24:25]
	v_fma_f64 v[8:9], v[64:65], v[192:193], v[8:9]
	v_fma_f64 v[10:11], v[64:65], v[194:195], -v[10:11]
	v_fma_f64 v[68:69], v[76:77], v[154:155], -v[30:31]
	v_fma_f64 v[64:65], v[76:77], v[152:153], v[28:29]
	v_fma_f64 v[12:13], v[60:61], v[176:177], v[12:13]
	v_fma_f64 v[14:15], v[60:61], v[178:179], -v[14:15]
	v_fma_f64 v[16:17], v[72:73], v[188:189], v[16:17]
	v_fma_f64 v[18:19], v[72:73], v[190:191], -v[18:19]
	v_add_f64 v[26:27], v[2:3], v[6:7]
	v_add_f64 v[40:41], v[168:169], v[0:1]
	;; [unrolled: 1-line block ×3, first 2 shown]
	v_add_f64 v[0:1], v[0:1], -v[4:5]
	v_add_f64 v[42:43], v[2:3], -v[6:7]
	v_add_f64 v[2:3], v[170:171], v[2:3]
	v_add_f64 v[44:45], v[164:165], v[8:9]
	;; [unrolled: 1-line block ×4, first 2 shown]
	v_add_f64 v[74:75], v[70:71], -v[68:69]
	v_add_f64 v[36:37], v[64:65], v[66:67]
	v_add_f64 v[78:79], v[66:67], -v[64:65]
	v_add_f64 v[28:29], v[8:9], v[12:13]
	v_add_f64 v[30:31], v[10:11], v[14:15]
	v_add_f64 v[10:11], v[10:11], -v[14:15]
	v_add_f64 v[8:9], v[8:9], -v[12:13]
	v_add_f64 v[32:33], v[16:17], v[20:21]
	v_add_f64 v[34:35], v[18:19], v[22:23]
	;; [unrolled: 1-line block ×4, first 2 shown]
	v_add_f64 v[18:19], v[18:19], -v[22:23]
	v_add_f64 v[16:17], v[16:17], -v[20:21]
	v_fma_f64 v[26:27], v[26:27], -0.5, v[170:171]
	v_add_f64 v[80:81], v[40:41], v[4:5]
	v_fma_f64 v[24:25], v[24:25], -0.5, v[168:169]
	v_add_f64 v[82:83], v[2:3], v[6:7]
	v_add_f64 v[84:85], v[44:45], v[12:13]
	;; [unrolled: 1-line block ×3, first 2 shown]
	v_fma_f64 v[76:77], v[38:39], -0.5, v[158:159]
	v_fma_f64 v[72:73], v[36:37], -0.5, v[156:157]
	;; [unrolled: 1-line block ×6, first 2 shown]
	v_add_f64 v[88:89], v[48:49], v[20:21]
	v_add_f64 v[90:91], v[50:51], v[22:23]
	v_fma_f64 v[154:155], v[0:1], s[8:9], v[26:27]
	v_fma_f64 v[162:163], v[0:1], s[10:11], v[26:27]
	scratch_load_b32 v0, off, off offset:232 ; 4-byte Folded Reload
	v_fma_f64 v[152:153], v[42:43], s[10:11], v[24:25]
	v_fma_f64 v[160:161], v[42:43], s[8:9], v[24:25]
	s_waitcnt vmcnt(0)
	ds_store_b128 v0, v[80:83]
	ds_store_b128 v0, v[152:155] offset:176
	ds_store_b128 v0, v[160:163] offset:352
	scratch_load_b32 v0, off, off offset:228 ; 4-byte Folded Reload
	v_fma_f64 v[164:165], v[10:11], s[10:11], v[28:29]
	v_fma_f64 v[166:167], v[8:9], s[8:9], v[30:31]
	;; [unrolled: 1-line block ×10, first 2 shown]
	s_waitcnt vmcnt(0)
	ds_store_b128 v0, v[84:87]
	ds_store_b128 v0, v[164:167] offset:176
	ds_store_b128 v0, v[168:171] offset:352
	scratch_load_b32 v0, off, off offset:224 ; 4-byte Folded Reload
	s_waitcnt vmcnt(0)
	ds_store_b128 v0, v[88:91]
	ds_store_b128 v0, v[172:175] offset:176
	ds_store_b128 v0, v[176:179] offset:352
	s_and_saveexec_b32 s1, vcc_lo
	s_cbranch_execz .LBB0_13
; %bb.12:
	v_mul_f64 v[0:1], v[78:79], s[8:9]
	v_add_f64 v[4:5], v[156:157], v[66:67]
	v_add_f64 v[2:3], v[70:71], v[158:159]
	v_mul_f64 v[6:7], v[74:75], s[8:9]
	s_delay_alu instid0(VALU_DEP_4)
	v_add_f64 v[66:67], v[0:1], v[76:77]
	s_clause 0x1
	scratch_load_b32 v0, off, off offset:216
	scratch_load_b32 v1, off, off offset:220
	v_add_f64 v[70:71], v[68:69], v[2:3]
	v_add_f64 v[68:69], v[64:65], v[4:5]
	v_add_f64 v[64:65], v[72:73], -v[6:7]
	s_waitcnt vmcnt(0)
	v_mad_u16 v0, v0, 33, v1
	s_delay_alu instid0(VALU_DEP_1) | instskip(NEXT) | instid1(VALU_DEP_1)
	v_and_b32_e32 v0, 0xffff, v0
	v_lshlrev_b32_e32 v0, 4, v0
	ds_store_b128 v0, v[68:71]
	ds_store_b128 v0, v[64:67] offset:176
	ds_store_b128 v0, v[60:63] offset:352
.LBB0_13:
	s_or_b32 exec_lo, exec_lo, s1
	s_waitcnt lgkmcnt(0)
	s_barrier
	buffer_gl0_inv
	ds_load_b128 v[64:67], v204 offset:2112
	ds_load_b128 v[68:71], v204
	scratch_load_b128 v[4:7], off, off offset:184 ; 16-byte Folded Reload
	s_mov_b32 s22, 0xf8bb580b
	s_mov_b32 s23, 0xbfe14ced
	;; [unrolled: 1-line block ×16, first 2 shown]
	s_waitcnt vmcnt(0) lgkmcnt(1)
	v_mul_f64 v[0:1], v[6:7], v[66:67]
	v_mul_f64 v[2:3], v[6:7], v[64:65]
	s_delay_alu instid0(VALU_DEP_2) | instskip(NEXT) | instid1(VALU_DEP_2)
	v_fma_f64 v[0:1], v[4:5], v[64:65], v[0:1]
	v_fma_f64 v[2:3], v[4:5], v[66:67], -v[2:3]
	ds_load_b128 v[44:47], v204 offset:4224
	ds_load_b128 v[64:67], v204 offset:6336
	scratch_load_b128 v[12:15], off, off offset:200 ; 16-byte Folded Reload
	s_waitcnt lgkmcnt(1)
	v_mul_f64 v[4:5], v[54:55], v[44:45]
	v_mul_f64 v[6:7], v[54:55], v[46:47]
	s_delay_alu instid0(VALU_DEP_2) | instskip(NEXT) | instid1(VALU_DEP_2)
	v_fma_f64 v[4:5], v[52:53], v[46:47], -v[4:5]
	v_fma_f64 v[6:7], v[52:53], v[44:45], v[6:7]
	ds_load_b128 v[44:47], v204 offset:21120
	s_waitcnt vmcnt(0) lgkmcnt(0)
	v_mul_f64 v[8:9], v[14:15], v[44:45]
	v_mul_f64 v[10:11], v[14:15], v[46:47]
	;; [unrolled: 1-line block ×3, first 2 shown]
	s_delay_alu instid0(VALU_DEP_3) | instskip(NEXT) | instid1(VALU_DEP_3)
	v_fma_f64 v[8:9], v[12:13], v[46:47], -v[8:9]
	v_fma_f64 v[10:11], v[12:13], v[44:45], v[10:11]
	ds_load_b128 v[44:47], v204 offset:19008
	ds_load_b128 v[48:51], v204 offset:16896
	v_mul_f64 v[12:13], v[114:115], v[64:65]
	v_fma_f64 v[14:15], v[112:113], v[64:65], v[14:15]
	s_waitcnt lgkmcnt(1)
	v_mul_f64 v[16:17], v[58:59], v[44:45]
	v_mul_f64 v[18:19], v[58:59], v[46:47]
	s_waitcnt lgkmcnt(0)
	v_mul_f64 v[20:21], v[106:107], v[48:49]
	v_mul_f64 v[22:23], v[106:107], v[50:51]
	v_add_f64 v[40:41], v[2:3], -v[8:9]
	v_add_f64 v[78:79], v[0:1], -v[10:11]
	v_fma_f64 v[12:13], v[112:113], v[66:67], -v[12:13]
	v_fma_f64 v[16:17], v[56:57], v[46:47], -v[16:17]
	v_fma_f64 v[18:19], v[56:57], v[44:45], v[18:19]
	v_fma_f64 v[20:21], v[104:105], v[50:51], -v[20:21]
	v_fma_f64 v[22:23], v[104:105], v[48:49], v[22:23]
	ds_load_b128 v[44:47], v204 offset:8448
	ds_load_b128 v[48:51], v204 offset:10560
	v_mul_f64 v[42:43], v[40:41], s[22:23]
	s_waitcnt lgkmcnt(1)
	v_mul_f64 v[24:25], v[94:95], v[46:47]
	v_mul_f64 v[26:27], v[94:95], v[44:45]
	s_waitcnt lgkmcnt(0)
	v_mul_f64 v[32:33], v[110:111], v[50:51]
	v_mul_f64 v[34:35], v[110:111], v[48:49]
	v_add_f64 v[106:107], v[6:7], v[18:19]
	v_add_f64 v[110:111], v[6:7], -v[18:19]
	v_add_f64 v[114:115], v[14:15], v[22:23]
	v_add_f64 v[154:155], v[14:15], -v[22:23]
	v_fma_f64 v[24:25], v[92:93], v[44:45], v[24:25]
	v_fma_f64 v[26:27], v[92:93], v[46:47], -v[26:27]
	ds_load_b128 v[44:47], v204 offset:14784
	ds_load_b128 v[52:55], v204 offset:12672
	v_fma_f64 v[32:33], v[108:109], v[48:49], v[32:33]
	v_fma_f64 v[34:35], v[108:109], v[50:51], -v[34:35]
	v_mul_f64 v[48:49], v[40:41], s[18:19]
	v_add_f64 v[50:51], v[0:1], v[10:11]
	v_add_f64 v[0:1], v[68:69], v[0:1]
	s_waitcnt lgkmcnt(0)
	s_barrier
	buffer_gl0_inv
	v_mul_f64 v[28:29], v[98:99], v[46:47]
	v_mul_f64 v[30:31], v[98:99], v[44:45]
	;; [unrolled: 1-line block ×4, first 2 shown]
	v_fma_f64 v[58:59], v[50:51], s[10:11], v[48:49]
	v_fma_f64 v[48:49], v[50:51], s[10:11], -v[48:49]
	v_add_f64 v[0:1], v[0:1], v[6:7]
	v_fma_f64 v[28:29], v[96:97], v[44:45], v[28:29]
	v_fma_f64 v[30:31], v[96:97], v[46:47], -v[30:31]
	v_mul_f64 v[44:45], v[40:41], s[38:39]
	v_mul_f64 v[46:47], v[40:41], s[36:37]
	;; [unrolled: 1-line block ×3, first 2 shown]
	v_fma_f64 v[36:37], v[100:101], v[52:53], v[36:37]
	v_fma_f64 v[38:39], v[100:101], v[54:55], -v[38:39]
	v_fma_f64 v[52:53], v[50:51], s[16:17], v[42:43]
	v_fma_f64 v[42:43], v[50:51], s[16:17], -v[42:43]
	v_add_f64 v[94:95], v[68:69], v[58:59]
	v_add_f64 v[48:49], v[68:69], v[48:49]
	;; [unrolled: 1-line block ×4, first 2 shown]
	v_add_f64 v[158:159], v[26:27], -v[30:31]
	v_fma_f64 v[54:55], v[50:51], s[12:13], v[44:45]
	v_fma_f64 v[44:45], v[50:51], s[12:13], -v[44:45]
	v_fma_f64 v[56:57], v[50:51], s[14:15], v[46:47]
	v_fma_f64 v[46:47], v[50:51], s[14:15], -v[46:47]
	;; [unrolled: 2-line block ×3, first 2 shown]
	v_add_f64 v[50:51], v[2:3], v[8:9]
	v_add_f64 v[90:91], v[68:69], v[52:53]
	v_add_f64 v[42:43], v[68:69], v[42:43]
	v_add_f64 v[164:165], v[26:27], v[30:31]
	v_add_f64 v[166:167], v[24:25], -v[28:29]
	v_add_f64 v[170:171], v[34:35], -v[38:39]
	v_add_f64 v[172:173], v[32:33], v[36:37]
	v_add_f64 v[176:177], v[32:33], -v[36:37]
	v_add_f64 v[2:3], v[70:71], v[2:3]
	v_add_f64 v[0:1], v[0:1], v[24:25]
	v_mul_f64 v[162:163], v[158:159], s[18:19]
	v_add_f64 v[54:55], v[68:69], v[54:55]
	v_mul_f64 v[188:189], v[158:159], s[26:27]
	v_mul_f64 v[202:203], v[158:159], s[22:23]
	v_add_f64 v[92:93], v[68:69], v[46:47]
	v_add_f64 v[96:97], v[68:69], v[64:65]
	;; [unrolled: 1-line block ×3, first 2 shown]
	v_mul_f64 v[72:73], v[50:51], s[12:13]
	v_mul_f64 v[74:75], v[50:51], s[14:15]
	;; [unrolled: 1-line block ×14, first 2 shown]
	v_add_f64 v[2:3], v[2:3], v[4:5]
	v_add_f64 v[0:1], v[0:1], v[32:33]
	v_fma_f64 v[80:81], v[78:79], s[28:29], v[72:73]
	v_fma_f64 v[72:73], v[78:79], s[38:39], v[72:73]
	;; [unrolled: 1-line block ×10, first 2 shown]
	v_add_f64 v[2:3], v[2:3], v[12:13]
	v_add_f64 v[0:1], v[0:1], v[36:37]
	;; [unrolled: 1-line block ×4, first 2 shown]
	v_add_f64 v[72:73], v[4:5], -v[16:17]
	v_add_f64 v[100:101], v[70:71], v[74:75]
	v_add_f64 v[74:75], v[4:5], v[16:17]
	;; [unrolled: 1-line block ×14, first 2 shown]
	v_mul_f64 v[108:109], v[72:73], s[38:39]
	v_mul_f64 v[180:181], v[72:73], s[18:19]
	;; [unrolled: 1-line block ×9, first 2 shown]
	v_add_f64 v[2:3], v[2:3], v[34:35]
	v_add_f64 v[0:1], v[0:1], v[22:23]
	v_fma_f64 v[44:45], v[106:107], s[12:13], -v[108:109]
	v_fma_f64 v[66:67], v[110:111], s[34:35], v[196:197]
	s_delay_alu instid0(VALU_DEP_4) | instskip(NEXT) | instid1(VALU_DEP_4)
	v_add_f64 v[2:3], v[2:3], v[38:39]
	v_add_f64 v[0:1], v[0:1], v[18:19]
	s_delay_alu instid0(VALU_DEP_4) | instskip(SKIP_4) | instid1(VALU_DEP_4)
	v_add_f64 v[42:43], v[44:45], v[42:43]
	v_fma_f64 v[44:45], v[110:111], s[38:39], v[112:113]
	v_add_f64 v[66:67], v[66:67], v[82:83]
	v_mul_f64 v[82:83], v[74:75], s[14:15]
	v_add_f64 v[2:3], v[2:3], v[30:31]
	v_add_f64 v[44:45], v[44:45], v[52:53]
	v_add_f64 v[52:53], v[12:13], -v[20:21]
	s_delay_alu instid0(VALU_DEP_4) | instskip(NEXT) | instid1(VALU_DEP_4)
	v_fma_f64 v[70:71], v[110:111], s[36:37], v[82:83]
	v_add_f64 v[2:3], v[2:3], v[20:21]
	s_delay_alu instid0(VALU_DEP_3)
	v_mul_f64 v[152:153], v[52:53], s[36:37]
	v_mul_f64 v[184:185], v[52:53], s[20:21]
	;; [unrolled: 1-line block ×3, first 2 shown]
	v_add_f64 v[70:71], v[70:71], v[84:85]
	v_mul_f64 v[84:85], v[52:53], s[22:23]
	v_mul_f64 v[52:53], v[52:53], s[18:19]
	v_add_f64 v[2:3], v[2:3], v[16:17]
	v_fma_f64 v[46:47], v[114:115], s[14:15], -v[152:153]
	v_fma_f64 v[58:59], v[114:115], s[8:9], v[184:185]
	v_fma_f64 v[68:69], v[114:115], s[12:13], v[198:199]
	s_delay_alu instid0(VALU_DEP_3) | instskip(SKIP_1) | instid1(VALU_DEP_1)
	v_add_f64 v[42:43], v[46:47], v[42:43]
	v_fma_f64 v[46:47], v[154:155], s[36:37], v[156:157]
	v_add_f64 v[44:45], v[46:47], v[44:45]
	v_fma_f64 v[46:47], v[160:161], s[10:11], -v[162:163]
	s_delay_alu instid0(VALU_DEP_1) | instskip(SKIP_1) | instid1(VALU_DEP_1)
	v_add_f64 v[42:43], v[46:47], v[42:43]
	v_fma_f64 v[46:47], v[166:167], s[18:19], v[168:169]
	v_add_f64 v[46:47], v[46:47], v[44:45]
	v_fma_f64 v[44:45], v[172:173], s[8:9], -v[174:175]
	s_delay_alu instid0(VALU_DEP_1) | instskip(SKIP_1) | instid1(VALU_DEP_1)
	v_add_f64 v[44:45], v[44:45], v[42:43]
	v_add_f64 v[42:43], v[34:35], v[38:39]
	v_mul_f64 v[178:179], v[42:43], s[8:9]
	v_mul_f64 v[209:210], v[42:43], s[10:11]
	;; [unrolled: 1-line block ×3, first 2 shown]
	s_delay_alu instid0(VALU_DEP_3) | instskip(NEXT) | instid1(VALU_DEP_1)
	v_fma_f64 v[56:57], v[176:177], s[34:35], v[178:179]
	v_add_f64 v[46:47], v[56:57], v[46:47]
	v_fma_f64 v[56:57], v[106:107], s[10:11], v[180:181]
	s_delay_alu instid0(VALU_DEP_1) | instskip(SKIP_1) | instid1(VALU_DEP_2)
	v_add_f64 v[54:55], v[56:57], v[54:55]
	v_fma_f64 v[56:57], v[110:111], s[24:25], v[182:183]
	v_add_f64 v[54:55], v[58:59], v[54:55]
	s_delay_alu instid0(VALU_DEP_2) | instskip(SKIP_2) | instid1(VALU_DEP_2)
	v_add_f64 v[56:57], v[56:57], v[78:79]
	v_fma_f64 v[58:59], v[154:155], s[34:35], v[186:187]
	v_fma_f64 v[78:79], v[114:115], s[16:17], v[84:85]
	v_add_f64 v[56:57], v[58:59], v[56:57]
	v_fma_f64 v[58:59], v[160:161], s[14:15], v[188:189]
	s_delay_alu instid0(VALU_DEP_1) | instskip(SKIP_1) | instid1(VALU_DEP_1)
	v_add_f64 v[54:55], v[58:59], v[54:55]
	v_fma_f64 v[58:59], v[166:167], s[36:37], v[190:191]
	v_add_f64 v[58:59], v[58:59], v[56:57]
	v_fma_f64 v[56:57], v[172:173], s[16:17], v[192:193]
	s_delay_alu instid0(VALU_DEP_1) | instskip(SKIP_2) | instid1(VALU_DEP_2)
	v_add_f64 v[56:57], v[56:57], v[54:55]
	v_mul_f64 v[54:55], v[42:43], s[16:17]
	v_mul_f64 v[42:43], v[42:43], s[14:15]
	v_fma_f64 v[64:65], v[176:177], s[22:23], v[54:55]
	v_fma_f64 v[54:55], v[176:177], s[30:31], v[54:55]
	s_delay_alu instid0(VALU_DEP_2) | instskip(SKIP_1) | instid1(VALU_DEP_1)
	v_add_f64 v[58:59], v[64:65], v[58:59]
	v_fma_f64 v[64:65], v[106:107], s[8:9], v[194:195]
	v_add_f64 v[64:65], v[64:65], v[80:81]
	v_mul_f64 v[80:81], v[72:73], s[26:27]
	s_delay_alu instid0(VALU_DEP_2) | instskip(SKIP_1) | instid1(VALU_DEP_1)
	v_add_f64 v[64:65], v[68:69], v[64:65]
	v_fma_f64 v[68:69], v[154:155], s[38:39], v[200:201]
	v_add_f64 v[66:67], v[68:69], v[66:67]
	v_fma_f64 v[68:69], v[160:161], s[16:17], v[202:203]
	s_delay_alu instid0(VALU_DEP_1) | instskip(SKIP_1) | instid1(VALU_DEP_1)
	v_add_f64 v[64:65], v[68:69], v[64:65]
	v_fma_f64 v[68:69], v[166:167], s[30:31], v[205:206]
	v_add_f64 v[66:67], v[68:69], v[66:67]
	v_fma_f64 v[68:69], v[172:173], s[10:11], v[207:208]
	s_delay_alu instid0(VALU_DEP_1) | instskip(SKIP_1) | instid1(VALU_DEP_1)
	v_add_f64 v[64:65], v[68:69], v[64:65]
	v_fma_f64 v[68:69], v[176:177], s[24:25], v[209:210]
	v_add_f64 v[66:67], v[68:69], v[66:67]
	v_fma_f64 v[68:69], v[106:107], s[14:15], v[80:81]
	s_delay_alu instid0(VALU_DEP_1) | instskip(SKIP_2) | instid1(VALU_DEP_3)
	v_add_f64 v[68:69], v[68:69], v[94:95]
	v_mul_f64 v[94:95], v[76:77], s[16:17]
	v_mul_f64 v[76:77], v[76:77], s[10:11]
	v_add_f64 v[68:69], v[78:79], v[68:69]
	s_delay_alu instid0(VALU_DEP_3) | instskip(NEXT) | instid1(VALU_DEP_1)
	v_fma_f64 v[78:79], v[154:155], s[30:31], v[94:95]
	v_add_f64 v[70:71], v[78:79], v[70:71]
	v_fma_f64 v[78:79], v[160:161], s[8:9], v[211:212]
	s_delay_alu instid0(VALU_DEP_1) | instskip(SKIP_1) | instid1(VALU_DEP_1)
	v_add_f64 v[68:69], v[78:79], v[68:69]
	v_fma_f64 v[78:79], v[166:167], s[20:21], v[214:215]
	v_add_f64 v[70:71], v[78:79], v[70:71]
	v_fma_f64 v[78:79], v[172:173], s[12:13], v[216:217]
	s_delay_alu instid0(VALU_DEP_1) | instskip(SKIP_1) | instid1(VALU_DEP_1)
	v_add_f64 v[68:69], v[78:79], v[68:69]
	v_fma_f64 v[78:79], v[176:177], s[38:39], v[218:219]
	v_add_f64 v[70:71], v[78:79], v[70:71]
	v_mul_f64 v[78:79], v[72:73], s[30:31]
	s_delay_alu instid0(VALU_DEP_1) | instskip(SKIP_1) | instid1(VALU_DEP_2)
	v_fma_f64 v[72:73], v[106:107], s[16:17], v[78:79]
	v_fma_f64 v[78:79], v[106:107], s[16:17], -v[78:79]
	v_add_f64 v[72:73], v[72:73], v[96:97]
	v_mul_f64 v[96:97], v[74:75], s[16:17]
	s_delay_alu instid0(VALU_DEP_3) | instskip(NEXT) | instid1(VALU_DEP_2)
	v_add_f64 v[40:41], v[78:79], v[40:41]
	v_fma_f64 v[74:75], v[110:111], s[22:23], v[96:97]
	v_fma_f64 v[78:79], v[110:111], s[30:31], v[96:97]
	s_delay_alu instid0(VALU_DEP_2) | instskip(SKIP_2) | instid1(VALU_DEP_4)
	v_add_f64 v[74:75], v[74:75], v[86:87]
	v_fma_f64 v[86:87], v[114:115], s[10:11], v[52:53]
	v_fma_f64 v[52:53], v[114:115], s[10:11], -v[52:53]
	v_add_f64 v[50:51], v[78:79], v[50:51]
	s_delay_alu instid0(VALU_DEP_3) | instskip(SKIP_1) | instid1(VALU_DEP_4)
	v_add_f64 v[72:73], v[86:87], v[72:73]
	v_fma_f64 v[86:87], v[154:155], s[24:25], v[76:77]
	v_add_f64 v[40:41], v[52:53], v[40:41]
	v_fma_f64 v[52:53], v[154:155], s[18:19], v[76:77]
	s_delay_alu instid0(VALU_DEP_3) | instskip(SKIP_1) | instid1(VALU_DEP_3)
	v_add_f64 v[74:75], v[86:87], v[74:75]
	v_mul_f64 v[86:87], v[158:159], s[28:29]
	v_add_f64 v[50:51], v[52:53], v[50:51]
	s_delay_alu instid0(VALU_DEP_2) | instskip(SKIP_2) | instid1(VALU_DEP_3)
	v_fma_f64 v[158:159], v[160:161], s[12:13], v[86:87]
	v_fma_f64 v[52:53], v[160:161], s[12:13], -v[86:87]
	v_fma_f64 v[86:87], v[154:155], s[26:27], v[156:157]
	v_add_f64 v[72:73], v[158:159], v[72:73]
	v_mul_f64 v[158:159], v[164:165], s[12:13]
	s_delay_alu instid0(VALU_DEP_4) | instskip(NEXT) | instid1(VALU_DEP_2)
	v_add_f64 v[40:41], v[52:53], v[40:41]
	v_fma_f64 v[164:165], v[166:167], s[38:39], v[158:159]
	v_fma_f64 v[52:53], v[166:167], s[28:29], v[158:159]
	s_delay_alu instid0(VALU_DEP_2) | instskip(SKIP_1) | instid1(VALU_DEP_3)
	v_add_f64 v[74:75], v[164:165], v[74:75]
	v_mul_f64 v[164:165], v[170:171], s[36:37]
	v_add_f64 v[50:51], v[52:53], v[50:51]
	s_delay_alu instid0(VALU_DEP_2) | instskip(SKIP_1) | instid1(VALU_DEP_2)
	v_fma_f64 v[170:171], v[172:173], s[14:15], v[164:165]
	v_fma_f64 v[52:53], v[172:173], s[14:15], -v[164:165]
	v_add_f64 v[72:73], v[170:171], v[72:73]
	v_fma_f64 v[170:171], v[176:177], s[26:27], v[42:43]
	v_fma_f64 v[42:43], v[176:177], s[36:37], v[42:43]
	s_delay_alu instid0(VALU_DEP_4)
	v_add_f64 v[76:77], v[52:53], v[40:41]
	v_fma_f64 v[40:41], v[106:107], s[14:15], -v[80:81]
	v_fma_f64 v[52:53], v[114:115], s[8:9], -v[184:185]
	v_add_f64 v[74:75], v[170:171], v[74:75]
	v_add_f64 v[78:79], v[42:43], v[50:51]
	v_fma_f64 v[42:43], v[110:111], s[26:27], v[82:83]
	v_add_f64 v[40:41], v[40:41], v[48:49]
	v_fma_f64 v[48:49], v[114:115], s[16:17], -v[84:85]
	v_fma_f64 v[50:51], v[176:177], s[28:29], v[218:219]
	v_fma_f64 v[84:85], v[114:115], s[14:15], v[152:153]
	v_add_f64 v[42:43], v[42:43], v[98:99]
	s_delay_alu instid0(VALU_DEP_4) | instskip(SKIP_1) | instid1(VALU_DEP_1)
	v_add_f64 v[40:41], v[48:49], v[40:41]
	v_fma_f64 v[48:49], v[154:155], s[22:23], v[94:95]
	v_add_f64 v[42:43], v[48:49], v[42:43]
	v_fma_f64 v[48:49], v[160:161], s[8:9], -v[211:212]
	s_delay_alu instid0(VALU_DEP_1) | instskip(SKIP_1) | instid1(VALU_DEP_1)
	v_add_f64 v[40:41], v[48:49], v[40:41]
	v_fma_f64 v[48:49], v[166:167], s[34:35], v[214:215]
	v_add_f64 v[42:43], v[48:49], v[42:43]
	v_fma_f64 v[48:49], v[172:173], s[12:13], -v[216:217]
	s_delay_alu instid0(VALU_DEP_2) | instskip(NEXT) | instid1(VALU_DEP_2)
	v_add_f64 v[82:83], v[50:51], v[42:43]
	v_add_f64 v[80:81], v[48:49], v[40:41]
	v_fma_f64 v[40:41], v[106:107], s[8:9], -v[194:195]
	v_fma_f64 v[42:43], v[110:111], s[20:21], v[196:197]
	v_fma_f64 v[48:49], v[114:115], s[12:13], -v[198:199]
	v_fma_f64 v[50:51], v[176:177], s[18:19], v[209:210]
	s_delay_alu instid0(VALU_DEP_4) | instskip(NEXT) | instid1(VALU_DEP_4)
	v_add_f64 v[40:41], v[40:41], v[92:93]
	v_add_f64 v[42:43], v[42:43], v[100:101]
	s_delay_alu instid0(VALU_DEP_2) | instskip(SKIP_1) | instid1(VALU_DEP_1)
	v_add_f64 v[40:41], v[48:49], v[40:41]
	v_fma_f64 v[48:49], v[154:155], s[28:29], v[200:201]
	v_add_f64 v[42:43], v[48:49], v[42:43]
	v_fma_f64 v[48:49], v[160:161], s[16:17], -v[202:203]
	s_delay_alu instid0(VALU_DEP_1) | instskip(SKIP_1) | instid1(VALU_DEP_1)
	v_add_f64 v[40:41], v[48:49], v[40:41]
	v_fma_f64 v[48:49], v[166:167], s[22:23], v[205:206]
	v_add_f64 v[42:43], v[48:49], v[42:43]
	v_fma_f64 v[48:49], v[172:173], s[10:11], -v[207:208]
	s_delay_alu instid0(VALU_DEP_2) | instskip(NEXT) | instid1(VALU_DEP_2)
	v_add_f64 v[50:51], v[50:51], v[42:43]
	v_add_f64 v[48:49], v[48:49], v[40:41]
	v_fma_f64 v[40:41], v[106:107], s[10:11], -v[180:181]
	v_fma_f64 v[42:43], v[110:111], s[18:19], v[182:183]
	s_delay_alu instid0(VALU_DEP_2) | instskip(NEXT) | instid1(VALU_DEP_2)
	v_add_f64 v[40:41], v[40:41], v[88:89]
	v_add_f64 v[42:43], v[42:43], v[102:103]
	v_fma_f64 v[88:89], v[160:161], s[10:11], v[162:163]
	s_delay_alu instid0(VALU_DEP_3) | instskip(SKIP_1) | instid1(VALU_DEP_1)
	v_add_f64 v[40:41], v[52:53], v[40:41]
	v_fma_f64 v[52:53], v[154:155], s[20:21], v[186:187]
	v_add_f64 v[42:43], v[52:53], v[42:43]
	v_fma_f64 v[52:53], v[160:161], s[14:15], -v[188:189]
	s_delay_alu instid0(VALU_DEP_1) | instskip(SKIP_1) | instid1(VALU_DEP_1)
	v_add_f64 v[40:41], v[52:53], v[40:41]
	v_fma_f64 v[52:53], v[166:167], s[26:27], v[190:191]
	v_add_f64 v[42:43], v[52:53], v[42:43]
	v_fma_f64 v[52:53], v[172:173], s[16:17], -v[192:193]
	s_delay_alu instid0(VALU_DEP_2) | instskip(NEXT) | instid1(VALU_DEP_2)
	v_add_f64 v[54:55], v[54:55], v[42:43]
	v_add_f64 v[52:53], v[52:53], v[40:41]
	v_fma_f64 v[40:41], v[106:107], s[12:13], v[108:109]
	v_fma_f64 v[42:43], v[110:111], s[28:29], v[112:113]
	s_delay_alu instid0(VALU_DEP_2) | instskip(NEXT) | instid1(VALU_DEP_2)
	v_add_f64 v[40:41], v[40:41], v[90:91]
	v_add_f64 v[42:43], v[42:43], v[104:105]
	v_fma_f64 v[90:91], v[166:167], s[24:25], v[168:169]
	s_delay_alu instid0(VALU_DEP_3) | instskip(NEXT) | instid1(VALU_DEP_3)
	v_add_f64 v[40:41], v[84:85], v[40:41]
	v_add_f64 v[42:43], v[86:87], v[42:43]
	v_fma_f64 v[84:85], v[172:173], s[8:9], v[174:175]
	v_fma_f64 v[86:87], v[176:177], s[20:21], v[178:179]
	s_delay_alu instid0(VALU_DEP_4) | instskip(NEXT) | instid1(VALU_DEP_4)
	v_add_f64 v[40:41], v[88:89], v[40:41]
	v_add_f64 v[42:43], v[90:91], v[42:43]
	;; [unrolled: 1-line block ×4, first 2 shown]
	s_delay_alu instid0(VALU_DEP_4) | instskip(NEXT) | instid1(VALU_DEP_4)
	v_add_f64 v[84:85], v[84:85], v[40:41]
	v_add_f64 v[86:87], v[86:87], v[42:43]
	ds_store_b128 v213, v[56:59] offset:1056
	ds_store_b128 v213, v[64:67] offset:1584
	;; [unrolled: 1-line block ×10, first 2 shown]
	ds_store_b128 v213, v[88:91]
	s_waitcnt lgkmcnt(0)
	s_barrier
	buffer_gl0_inv
	ds_load_b128 v[56:59], v204
	ds_load_b128 v[64:67], v204 offset:2112
	ds_load_b128 v[80:83], v204 offset:5808
	;; [unrolled: 1-line block ×7, first 2 shown]
	s_and_saveexec_b32 s1, s0
	s_cbranch_execz .LBB0_15
; %bb.14:
	ds_load_b128 v[48:51], v204 offset:4224
	ds_load_b128 v[52:55], v204 offset:10032
	;; [unrolled: 1-line block ×4, first 2 shown]
.LBB0_15:
	s_or_b32 exec_lo, exec_lo, s1
	s_waitcnt lgkmcnt(5)
	v_mul_f64 v[0:1], v[130:131], v[82:83]
	v_mul_f64 v[2:3], v[130:131], v[80:81]
	s_waitcnt lgkmcnt(3)
	v_mul_f64 v[4:5], v[134:135], v[86:87]
	v_mul_f64 v[6:7], v[134:135], v[84:85]
	;; [unrolled: 3-line block ×3, first 2 shown]
	v_mul_f64 v[12:13], v[142:143], v[70:71]
	v_mul_f64 v[14:15], v[142:143], v[68:69]
	;; [unrolled: 1-line block ×4, first 2 shown]
	s_waitcnt lgkmcnt(0)
	v_mul_f64 v[20:21], v[146:147], v[78:79]
	v_mul_f64 v[22:23], v[146:147], v[76:77]
	v_fma_f64 v[0:1], v[128:129], v[80:81], v[0:1]
	v_fma_f64 v[2:3], v[128:129], v[82:83], -v[2:3]
	v_fma_f64 v[4:5], v[132:133], v[84:85], v[4:5]
	v_fma_f64 v[6:7], v[132:133], v[86:87], -v[6:7]
	;; [unrolled: 2-line block ×6, first 2 shown]
	v_add_f64 v[4:5], v[56:57], -v[4:5]
	v_add_f64 v[6:7], v[58:59], -v[6:7]
	;; [unrolled: 1-line block ×8, first 2 shown]
	v_fma_f64 v[24:25], v[56:57], 2.0, -v[4:5]
	v_fma_f64 v[26:27], v[58:59], 2.0, -v[6:7]
	;; [unrolled: 1-line block ×4, first 2 shown]
	v_add_f64 v[56:57], v[4:5], v[10:11]
	v_add_f64 v[58:59], v[6:7], -v[8:9]
	v_fma_f64 v[28:29], v[64:65], 2.0, -v[16:17]
	v_fma_f64 v[30:31], v[66:67], 2.0, -v[18:19]
	;; [unrolled: 1-line block ×4, first 2 shown]
	v_add_f64 v[64:65], v[16:17], v[22:23]
	v_add_f64 v[66:67], v[18:19], -v[20:21]
	v_add_f64 v[68:69], v[24:25], -v[0:1]
	;; [unrolled: 1-line block ×3, first 2 shown]
	v_fma_f64 v[76:77], v[4:5], 2.0, -v[56:57]
	v_fma_f64 v[78:79], v[6:7], 2.0, -v[58:59]
	v_add_f64 v[72:73], v[28:29], -v[12:13]
	v_add_f64 v[74:75], v[30:31], -v[14:15]
	v_fma_f64 v[80:81], v[16:17], 2.0, -v[64:65]
	v_fma_f64 v[82:83], v[18:19], 2.0, -v[66:67]
	;; [unrolled: 1-line block ×6, first 2 shown]
	ds_store_b128 v204, v[76:79] offset:5808
	ds_store_b128 v204, v[80:83] offset:7920
	;; [unrolled: 1-line block ×4, first 2 shown]
	ds_store_b128 v204, v[84:87]
	ds_store_b128 v204, v[88:91] offset:2112
	ds_store_b128 v204, v[56:59] offset:17424
	;; [unrolled: 1-line block ×3, first 2 shown]
	s_and_saveexec_b32 s1, s0
	s_cbranch_execz .LBB0_17
; %bb.16:
	v_mul_f64 v[0:1], v[126:127], v[44:45]
	v_mul_f64 v[2:3], v[118:119], v[54:55]
	;; [unrolled: 1-line block ×6, first 2 shown]
	v_fma_f64 v[0:1], v[124:125], v[46:47], -v[0:1]
	v_fma_f64 v[2:3], v[116:117], v[52:53], v[2:3]
	v_fma_f64 v[4:5], v[116:117], v[54:55], -v[4:5]
	v_fma_f64 v[6:7], v[120:121], v[62:63], -v[6:7]
	v_fma_f64 v[8:9], v[124:125], v[44:45], v[8:9]
	v_fma_f64 v[10:11], v[120:121], v[60:61], v[10:11]
	v_add_f64 v[0:1], v[50:51], -v[0:1]
	s_delay_alu instid0(VALU_DEP_4) | instskip(NEXT) | instid1(VALU_DEP_4)
	v_add_f64 v[6:7], v[4:5], -v[6:7]
	v_add_f64 v[8:9], v[48:49], -v[8:9]
	s_delay_alu instid0(VALU_DEP_4) | instskip(NEXT) | instid1(VALU_DEP_4)
	v_add_f64 v[10:11], v[2:3], -v[10:11]
	v_fma_f64 v[12:13], v[50:51], 2.0, -v[0:1]
	s_delay_alu instid0(VALU_DEP_4) | instskip(NEXT) | instid1(VALU_DEP_4)
	v_fma_f64 v[4:5], v[4:5], 2.0, -v[6:7]
	v_fma_f64 v[14:15], v[48:49], 2.0, -v[8:9]
	s_delay_alu instid0(VALU_DEP_4) | instskip(SKIP_3) | instid1(VALU_DEP_4)
	v_fma_f64 v[2:3], v[2:3], 2.0, -v[10:11]
	v_add_f64 v[46:47], v[0:1], -v[10:11]
	v_add_f64 v[44:45], v[8:9], v[6:7]
	v_add_f64 v[50:51], v[12:13], -v[4:5]
	v_add_f64 v[48:49], v[14:15], -v[2:3]
	s_delay_alu instid0(VALU_DEP_4) | instskip(NEXT) | instid1(VALU_DEP_4)
	v_fma_f64 v[54:55], v[0:1], 2.0, -v[46:47]
	v_fma_f64 v[52:53], v[8:9], 2.0, -v[44:45]
	s_delay_alu instid0(VALU_DEP_4) | instskip(NEXT) | instid1(VALU_DEP_4)
	v_fma_f64 v[58:59], v[12:13], 2.0, -v[50:51]
	v_fma_f64 v[56:57], v[14:15], 2.0, -v[48:49]
	ds_store_b128 v204, v[56:59] offset:4224
	ds_store_b128 v204, v[52:55] offset:10032
	;; [unrolled: 1-line block ×4, first 2 shown]
.LBB0_17:
	s_or_b32 exec_lo, exec_lo, s1
	s_waitcnt lgkmcnt(0)
	s_barrier
	buffer_gl0_inv
	ds_load_b128 v[44:47], v204
	ds_load_b128 v[48:51], v204 offset:2112
	ds_load_b128 v[52:55], v204 offset:4224
	;; [unrolled: 1-line block ×3, first 2 shown]
	scratch_load_b64 v[0:1], off, off       ; 8-byte Folded Reload
	ds_load_b128 v[60:63], v204 offset:8448
	ds_load_b128 v[64:67], v204 offset:10560
	scratch_load_b128 v[95:98], off, off offset:8 ; 16-byte Folded Reload
	v_mad_u64_u32 v[14:15], null, s4, v255, 0
	s_mov_b32 s0, 0x3a88d0c0
	s_mov_b32 s1, 0x3f469147
	s_waitcnt vmcnt(1)
	v_mov_b32_e32 v94, v0
	s_waitcnt vmcnt(0) lgkmcnt(5)
	v_mul_f64 v[2:3], v[97:98], v[46:47]
	v_mul_f64 v[4:5], v[97:98], v[44:45]
	scratch_load_b128 v[97:100], off, off offset:24 ; 16-byte Folded Reload
	ds_load_b128 v[68:71], v204 offset:12672
	ds_load_b128 v[72:75], v204 offset:14784
	;; [unrolled: 1-line block ×4, first 2 shown]
	s_clause 0x2
	scratch_load_b128 v[103:106], off, off offset:56
	scratch_load_b128 v[111:114], off, off offset:104
	;; [unrolled: 1-line block ×3, first 2 shown]
	ds_load_b128 v[84:87], v204 offset:21120
	v_mad_u64_u32 v[0:1], null, s6, v94, 0
	s_mul_hi_u32 s6, s4, 0x840
	s_mulk_i32 s4, 0x840
	s_delay_alu instid0(VALU_DEP_1) | instskip(SKIP_2) | instid1(VALU_DEP_3)
	v_mad_u64_u32 v[92:93], null, s7, v94, v[1:2]
	v_fma_f64 v[2:3], v[95:96], v[44:45], v[2:3]
	v_fma_f64 v[4:5], v[95:96], v[46:47], -v[4:5]
	v_mov_b32_e32 v1, v92
	s_delay_alu instid0(VALU_DEP_1) | instskip(NEXT) | instid1(VALU_DEP_1)
	v_lshlrev_b64 v[0:1], 4, v[0:1]
	v_add_co_u32 v0, vcc_lo, s2, v0
	s_delay_alu instid0(VALU_DEP_2)
	v_add_co_ci_u32_e32 v1, vcc_lo, s3, v1, vcc_lo
	s_waitcnt vmcnt(3) lgkmcnt(9)
	v_mul_f64 v[6:7], v[99:100], v[50:51]
	v_mul_f64 v[8:9], v[99:100], v[48:49]
	scratch_load_b128 v[99:102], off, off offset:40 ; 16-byte Folded Reload
	s_waitcnt vmcnt(3) lgkmcnt(8)
	v_mul_f64 v[10:11], v[105:106], v[54:55]
	v_mul_f64 v[12:13], v[105:106], v[52:53]
	scratch_load_b128 v[105:108], off, off offset:72 ; 16-byte Folded Reload
	;; [unrolled: 4-line block ×3, first 2 shown]
	v_fma_f64 v[6:7], v[97:98], v[48:49], v[6:7]
	v_fma_f64 v[8:9], v[97:98], v[50:51], -v[8:9]
	v_fma_f64 v[10:11], v[103:104], v[52:53], v[10:11]
	v_fma_f64 v[12:13], v[103:104], v[54:55], -v[12:13]
	;; [unrolled: 2-line block ×3, first 2 shown]
	s_waitcnt vmcnt(2)
	v_mul_f64 v[16:17], v[101:102], v[58:59]
	v_mul_f64 v[18:19], v[101:102], v[56:57]
	s_waitcnt vmcnt(1) lgkmcnt(5)
	v_mul_f64 v[24:25], v[107:108], v[66:67]
	v_mul_f64 v[26:27], v[107:108], v[64:65]
	scratch_load_b128 v[107:110], off, off offset:88 ; 16-byte Folded Reload
	s_waitcnt vmcnt(1) lgkmcnt(4)
	v_mul_f64 v[28:29], v[115:116], v[70:71]
	v_mul_f64 v[30:31], v[115:116], v[68:69]
	scratch_load_b128 v[115:118], off, off offset:136 ; 16-byte Folded Reload
	s_waitcnt lgkmcnt(2)
	v_mul_f64 v[36:37], v[121:122], v[78:79]
	v_mul_f64 v[38:39], v[121:122], v[76:77]
	scratch_load_b128 v[121:124], off, off offset:168 ; 16-byte Folded Reload
	v_mad_u64_u32 v[93:94], null, s5, v255, v[15:16]
	v_fma_f64 v[16:17], v[99:100], v[56:57], v[16:17]
	v_fma_f64 v[18:19], v[99:100], v[58:59], -v[18:19]
	v_fma_f64 v[24:25], v[105:106], v[64:65], v[24:25]
	v_fma_f64 v[26:27], v[105:106], v[66:67], -v[26:27]
	;; [unrolled: 2-line block ×3, first 2 shown]
	v_mov_b32_e32 v15, v93
	v_fma_f64 v[36:37], v[119:120], v[76:77], v[36:37]
	v_fma_f64 v[38:39], v[119:120], v[78:79], -v[38:39]
	s_mulk_i32 s5, 0x840
	s_delay_alu instid0(VALU_DEP_3) | instskip(SKIP_1) | instid1(VALU_DEP_1)
	v_lshlrev_b64 v[14:15], 4, v[14:15]
	s_add_i32 s6, s6, s5
	v_add_co_u32 v48, vcc_lo, v0, v14
	s_delay_alu instid0(VALU_DEP_2)
	v_add_co_ci_u32_e32 v49, vcc_lo, v1, v15, vcc_lo
	v_mul_f64 v[0:1], v[2:3], s[0:1]
	v_mul_f64 v[2:3], v[4:5], s[0:1]
	v_mul_f64 v[4:5], v[6:7], s[0:1]
	v_mul_f64 v[6:7], v[8:9], s[0:1]
	v_add_co_u32 v50, vcc_lo, v48, s4
	v_add_co_ci_u32_e32 v51, vcc_lo, s6, v49, vcc_lo
	v_mul_f64 v[8:9], v[10:11], s[0:1]
	s_delay_alu instid0(VALU_DEP_3) | instskip(SKIP_1) | instid1(VALU_DEP_4)
	v_add_co_u32 v52, vcc_lo, v50, s4
	v_mul_f64 v[10:11], v[12:13], s[0:1]
	v_add_co_ci_u32_e32 v53, vcc_lo, s6, v51, vcc_lo
	s_delay_alu instid0(VALU_DEP_3)
	v_add_co_u32 v54, vcc_lo, v52, s4
	s_clause 0x1
	global_store_b128 v[48:49], v[0:3], off
	global_store_b128 v[50:51], v[4:7], off
	v_mul_f64 v[12:13], v[16:17], s[0:1]
	v_mul_f64 v[14:15], v[18:19], s[0:1]
	;; [unrolled: 1-line block ×8, first 2 shown]
	v_add_co_ci_u32_e32 v55, vcc_lo, s6, v53, vcc_lo
	s_clause 0x1
	global_store_b128 v[52:53], v[8:11], off
	global_store_b128 v[54:55], v[12:15], off
	s_waitcnt vmcnt(2)
	v_mul_f64 v[32:33], v[109:110], v[74:75]
	v_mul_f64 v[34:35], v[109:110], v[72:73]
	s_waitcnt vmcnt(1) lgkmcnt(1)
	v_mul_f64 v[40:41], v[117:118], v[82:83]
	v_mul_f64 v[42:43], v[117:118], v[80:81]
	s_waitcnt vmcnt(0) lgkmcnt(0)
	v_mul_f64 v[88:89], v[123:124], v[86:87]
	v_mul_f64 v[90:91], v[123:124], v[84:85]
	v_fma_f64 v[32:33], v[107:108], v[72:73], v[32:33]
	v_fma_f64 v[34:35], v[107:108], v[74:75], -v[34:35]
	v_fma_f64 v[40:41], v[115:116], v[80:81], v[40:41]
	v_fma_f64 v[42:43], v[115:116], v[82:83], -v[42:43]
	;; [unrolled: 2-line block ×3, first 2 shown]
	v_mul_f64 v[28:29], v[32:33], s[0:1]
	v_mul_f64 v[30:31], v[34:35], s[0:1]
	;; [unrolled: 1-line block ×8, first 2 shown]
	v_add_co_u32 v44, vcc_lo, v54, s4
	v_add_co_ci_u32_e32 v45, vcc_lo, s6, v55, vcc_lo
	s_delay_alu instid0(VALU_DEP_2) | instskip(NEXT) | instid1(VALU_DEP_2)
	v_add_co_u32 v46, vcc_lo, v44, s4
	v_add_co_ci_u32_e32 v47, vcc_lo, s6, v45, vcc_lo
	global_store_b128 v[44:45], v[16:19], off
	v_add_co_u32 v0, vcc_lo, v46, s4
	v_add_co_ci_u32_e32 v1, vcc_lo, s6, v47, vcc_lo
	global_store_b128 v[46:47], v[20:23], off
	v_add_co_u32 v2, vcc_lo, v0, s4
	v_add_co_ci_u32_e32 v3, vcc_lo, s6, v1, vcc_lo
	s_delay_alu instid0(VALU_DEP_2) | instskip(NEXT) | instid1(VALU_DEP_2)
	v_add_co_u32 v4, vcc_lo, v2, s4
	v_add_co_ci_u32_e32 v5, vcc_lo, s6, v3, vcc_lo
	s_delay_alu instid0(VALU_DEP_2) | instskip(NEXT) | instid1(VALU_DEP_2)
	;; [unrolled: 3-line block ×3, first 2 shown]
	v_add_co_u32 v8, vcc_lo, v6, s4
	v_add_co_ci_u32_e32 v9, vcc_lo, s6, v7, vcc_lo
	global_store_b128 v[0:1], v[24:27], off
	global_store_b128 v[2:3], v[28:31], off
	;; [unrolled: 1-line block ×5, first 2 shown]
.LBB0_18:
	s_nop 0
	s_sendmsg sendmsg(MSG_DEALLOC_VGPRS)
	s_endpgm
	.section	.rodata,"a",@progbits
	.p2align	6, 0x0
	.amdhsa_kernel bluestein_single_fwd_len1452_dim1_dp_op_CI_CI
		.amdhsa_group_segment_fixed_size 23232
		.amdhsa_private_segment_fixed_size 248
		.amdhsa_kernarg_size 104
		.amdhsa_user_sgpr_count 15
		.amdhsa_user_sgpr_dispatch_ptr 0
		.amdhsa_user_sgpr_queue_ptr 0
		.amdhsa_user_sgpr_kernarg_segment_ptr 1
		.amdhsa_user_sgpr_dispatch_id 0
		.amdhsa_user_sgpr_private_segment_size 0
		.amdhsa_wavefront_size32 1
		.amdhsa_uses_dynamic_stack 0
		.amdhsa_enable_private_segment 1
		.amdhsa_system_sgpr_workgroup_id_x 1
		.amdhsa_system_sgpr_workgroup_id_y 0
		.amdhsa_system_sgpr_workgroup_id_z 0
		.amdhsa_system_sgpr_workgroup_info 0
		.amdhsa_system_vgpr_workitem_id 0
		.amdhsa_next_free_vgpr 256
		.amdhsa_next_free_sgpr 40
		.amdhsa_reserve_vcc 1
		.amdhsa_float_round_mode_32 0
		.amdhsa_float_round_mode_16_64 0
		.amdhsa_float_denorm_mode_32 3
		.amdhsa_float_denorm_mode_16_64 3
		.amdhsa_dx10_clamp 1
		.amdhsa_ieee_mode 1
		.amdhsa_fp16_overflow 0
		.amdhsa_workgroup_processor_mode 1
		.amdhsa_memory_ordered 1
		.amdhsa_forward_progress 0
		.amdhsa_shared_vgpr_count 0
		.amdhsa_exception_fp_ieee_invalid_op 0
		.amdhsa_exception_fp_denorm_src 0
		.amdhsa_exception_fp_ieee_div_zero 0
		.amdhsa_exception_fp_ieee_overflow 0
		.amdhsa_exception_fp_ieee_underflow 0
		.amdhsa_exception_fp_ieee_inexact 0
		.amdhsa_exception_int_div_zero 0
	.end_amdhsa_kernel
	.text
.Lfunc_end0:
	.size	bluestein_single_fwd_len1452_dim1_dp_op_CI_CI, .Lfunc_end0-bluestein_single_fwd_len1452_dim1_dp_op_CI_CI
                                        ; -- End function
	.section	.AMDGPU.csdata,"",@progbits
; Kernel info:
; codeLenInByte = 20592
; NumSgprs: 42
; NumVgprs: 256
; ScratchSize: 248
; MemoryBound: 0
; FloatMode: 240
; IeeeMode: 1
; LDSByteSize: 23232 bytes/workgroup (compile time only)
; SGPRBlocks: 5
; VGPRBlocks: 31
; NumSGPRsForWavesPerEU: 42
; NumVGPRsForWavesPerEU: 256
; Occupancy: 5
; WaveLimiterHint : 1
; COMPUTE_PGM_RSRC2:SCRATCH_EN: 1
; COMPUTE_PGM_RSRC2:USER_SGPR: 15
; COMPUTE_PGM_RSRC2:TRAP_HANDLER: 0
; COMPUTE_PGM_RSRC2:TGID_X_EN: 1
; COMPUTE_PGM_RSRC2:TGID_Y_EN: 0
; COMPUTE_PGM_RSRC2:TGID_Z_EN: 0
; COMPUTE_PGM_RSRC2:TIDIG_COMP_CNT: 0
	.text
	.p2alignl 7, 3214868480
	.fill 96, 4, 3214868480
	.type	__hip_cuid_c28c0b1fd347fcd7,@object ; @__hip_cuid_c28c0b1fd347fcd7
	.section	.bss,"aw",@nobits
	.globl	__hip_cuid_c28c0b1fd347fcd7
__hip_cuid_c28c0b1fd347fcd7:
	.byte	0                               ; 0x0
	.size	__hip_cuid_c28c0b1fd347fcd7, 1

	.ident	"AMD clang version 19.0.0git (https://github.com/RadeonOpenCompute/llvm-project roc-6.4.0 25133 c7fe45cf4b819c5991fe208aaa96edf142730f1d)"
	.section	".note.GNU-stack","",@progbits
	.addrsig
	.addrsig_sym __hip_cuid_c28c0b1fd347fcd7
	.amdgpu_metadata
---
amdhsa.kernels:
  - .args:
      - .actual_access:  read_only
        .address_space:  global
        .offset:         0
        .size:           8
        .value_kind:     global_buffer
      - .actual_access:  read_only
        .address_space:  global
        .offset:         8
        .size:           8
        .value_kind:     global_buffer
      - .actual_access:  read_only
        .address_space:  global
        .offset:         16
        .size:           8
        .value_kind:     global_buffer
      - .actual_access:  read_only
        .address_space:  global
        .offset:         24
        .size:           8
        .value_kind:     global_buffer
      - .actual_access:  read_only
        .address_space:  global
        .offset:         32
        .size:           8
        .value_kind:     global_buffer
      - .offset:         40
        .size:           8
        .value_kind:     by_value
      - .address_space:  global
        .offset:         48
        .size:           8
        .value_kind:     global_buffer
      - .address_space:  global
        .offset:         56
        .size:           8
        .value_kind:     global_buffer
      - .address_space:  global
        .offset:         64
        .size:           8
        .value_kind:     global_buffer
      - .address_space:  global
        .offset:         72
        .size:           8
        .value_kind:     global_buffer
      - .offset:         80
        .size:           4
        .value_kind:     by_value
      - .address_space:  global
        .offset:         88
        .size:           8
        .value_kind:     global_buffer
      - .address_space:  global
        .offset:         96
        .size:           8
        .value_kind:     global_buffer
    .group_segment_fixed_size: 23232
    .kernarg_segment_align: 8
    .kernarg_segment_size: 104
    .language:       OpenCL C
    .language_version:
      - 2
      - 0
    .max_flat_workgroup_size: 132
    .name:           bluestein_single_fwd_len1452_dim1_dp_op_CI_CI
    .private_segment_fixed_size: 248
    .sgpr_count:     42
    .sgpr_spill_count: 0
    .symbol:         bluestein_single_fwd_len1452_dim1_dp_op_CI_CI.kd
    .uniform_work_group_size: 1
    .uses_dynamic_stack: false
    .vgpr_count:     256
    .vgpr_spill_count: 61
    .wavefront_size: 32
    .workgroup_processor_mode: 1
amdhsa.target:   amdgcn-amd-amdhsa--gfx1100
amdhsa.version:
  - 1
  - 2
...

	.end_amdgpu_metadata
